;; amdgpu-corpus repo=ROCm/rocFFT kind=compiled arch=gfx1100 opt=O3
	.text
	.amdgcn_target "amdgcn-amd-amdhsa--gfx1100"
	.amdhsa_code_object_version 6
	.protected	fft_rtc_back_len2592_factors_6_6_6_6_2_wgs_216_tpt_216_halfLds_dp_op_CI_CI_unitstride_sbrr_C2R_dirReg ; -- Begin function fft_rtc_back_len2592_factors_6_6_6_6_2_wgs_216_tpt_216_halfLds_dp_op_CI_CI_unitstride_sbrr_C2R_dirReg
	.globl	fft_rtc_back_len2592_factors_6_6_6_6_2_wgs_216_tpt_216_halfLds_dp_op_CI_CI_unitstride_sbrr_C2R_dirReg
	.p2align	8
	.type	fft_rtc_back_len2592_factors_6_6_6_6_2_wgs_216_tpt_216_halfLds_dp_op_CI_CI_unitstride_sbrr_C2R_dirReg,@function
fft_rtc_back_len2592_factors_6_6_6_6_2_wgs_216_tpt_216_halfLds_dp_op_CI_CI_unitstride_sbrr_C2R_dirReg: ; @fft_rtc_back_len2592_factors_6_6_6_6_2_wgs_216_tpt_216_halfLds_dp_op_CI_CI_unitstride_sbrr_C2R_dirReg
; %bb.0:
	s_clause 0x2
	s_load_b128 s[8:11], s[0:1], 0x0
	s_load_b128 s[4:7], s[0:1], 0x58
	;; [unrolled: 1-line block ×3, first 2 shown]
	v_mul_u32_u24_e32 v1, 0x130, v0
	v_mov_b32_e32 v6, 0
	s_delay_alu instid0(VALU_DEP_2) | instskip(NEXT) | instid1(VALU_DEP_1)
	v_lshrrev_b32_e32 v1, 16, v1
	v_dual_mov_b32 v1, 0 :: v_dual_add_nc_u32 v10, s15, v1
	s_delay_alu instid0(VALU_DEP_3) | instskip(SKIP_2) | instid1(VALU_DEP_1)
	v_dual_mov_b32 v11, v6 :: v_dual_mov_b32 v2, 0
	s_waitcnt lgkmcnt(0)
	v_cmp_lt_u64_e64 s2, s[10:11], 2
	s_and_b32 vcc_lo, exec_lo, s2
	s_cbranch_vccnz .LBB0_8
; %bb.1:
	s_load_b64 s[2:3], s[0:1], 0x10
	v_mov_b32_e32 v1, 0
	v_mov_b32_e32 v2, 0
	s_add_u32 s12, s18, 8
	s_addc_u32 s13, s19, 0
	s_add_u32 s14, s16, 8
	s_addc_u32 s15, s17, 0
	v_dual_mov_b32 v5, v2 :: v_dual_mov_b32 v4, v1
	s_mov_b64 s[22:23], 1
	s_waitcnt lgkmcnt(0)
	s_add_u32 s20, s2, 8
	s_addc_u32 s21, s3, 0
.LBB0_2:                                ; =>This Inner Loop Header: Depth=1
	s_load_b64 s[24:25], s[20:21], 0x0
                                        ; implicit-def: $vgpr8_vgpr9
	s_mov_b32 s2, exec_lo
	s_waitcnt lgkmcnt(0)
	v_or_b32_e32 v7, s25, v11
	s_delay_alu instid0(VALU_DEP_1)
	v_cmpx_ne_u64_e32 0, v[6:7]
	s_xor_b32 s3, exec_lo, s2
	s_cbranch_execz .LBB0_4
; %bb.3:                                ;   in Loop: Header=BB0_2 Depth=1
	v_cvt_f32_u32_e32 v3, s24
	v_cvt_f32_u32_e32 v7, s25
	s_sub_u32 s2, 0, s24
	s_subb_u32 s26, 0, s25
	s_delay_alu instid0(VALU_DEP_1) | instskip(NEXT) | instid1(VALU_DEP_1)
	v_fmac_f32_e32 v3, 0x4f800000, v7
	v_rcp_f32_e32 v3, v3
	s_waitcnt_depctr 0xfff
	v_mul_f32_e32 v3, 0x5f7ffffc, v3
	s_delay_alu instid0(VALU_DEP_1) | instskip(NEXT) | instid1(VALU_DEP_1)
	v_mul_f32_e32 v7, 0x2f800000, v3
	v_trunc_f32_e32 v7, v7
	s_delay_alu instid0(VALU_DEP_1) | instskip(SKIP_1) | instid1(VALU_DEP_2)
	v_fmac_f32_e32 v3, 0xcf800000, v7
	v_cvt_u32_f32_e32 v7, v7
	v_cvt_u32_f32_e32 v3, v3
	s_delay_alu instid0(VALU_DEP_2) | instskip(NEXT) | instid1(VALU_DEP_2)
	v_mul_lo_u32 v8, s2, v7
	v_mul_hi_u32 v9, s2, v3
	v_mul_lo_u32 v12, s26, v3
	s_delay_alu instid0(VALU_DEP_2) | instskip(SKIP_1) | instid1(VALU_DEP_2)
	v_add_nc_u32_e32 v8, v9, v8
	v_mul_lo_u32 v9, s2, v3
	v_add_nc_u32_e32 v8, v8, v12
	s_delay_alu instid0(VALU_DEP_2) | instskip(NEXT) | instid1(VALU_DEP_2)
	v_mul_hi_u32 v12, v3, v9
	v_mul_lo_u32 v13, v3, v8
	v_mul_hi_u32 v14, v3, v8
	v_mul_hi_u32 v15, v7, v9
	v_mul_lo_u32 v9, v7, v9
	v_mul_hi_u32 v16, v7, v8
	v_mul_lo_u32 v8, v7, v8
	v_add_co_u32 v12, vcc_lo, v12, v13
	v_add_co_ci_u32_e32 v13, vcc_lo, 0, v14, vcc_lo
	s_delay_alu instid0(VALU_DEP_2) | instskip(NEXT) | instid1(VALU_DEP_2)
	v_add_co_u32 v9, vcc_lo, v12, v9
	v_add_co_ci_u32_e32 v9, vcc_lo, v13, v15, vcc_lo
	v_add_co_ci_u32_e32 v12, vcc_lo, 0, v16, vcc_lo
	s_delay_alu instid0(VALU_DEP_2) | instskip(NEXT) | instid1(VALU_DEP_2)
	v_add_co_u32 v8, vcc_lo, v9, v8
	v_add_co_ci_u32_e32 v9, vcc_lo, 0, v12, vcc_lo
	s_delay_alu instid0(VALU_DEP_2) | instskip(NEXT) | instid1(VALU_DEP_2)
	v_add_co_u32 v3, vcc_lo, v3, v8
	v_add_co_ci_u32_e32 v7, vcc_lo, v7, v9, vcc_lo
	s_delay_alu instid0(VALU_DEP_2) | instskip(SKIP_1) | instid1(VALU_DEP_3)
	v_mul_hi_u32 v8, s2, v3
	v_mul_lo_u32 v12, s26, v3
	v_mul_lo_u32 v9, s2, v7
	s_delay_alu instid0(VALU_DEP_1) | instskip(SKIP_1) | instid1(VALU_DEP_2)
	v_add_nc_u32_e32 v8, v8, v9
	v_mul_lo_u32 v9, s2, v3
	v_add_nc_u32_e32 v8, v8, v12
	s_delay_alu instid0(VALU_DEP_2) | instskip(NEXT) | instid1(VALU_DEP_2)
	v_mul_hi_u32 v12, v3, v9
	v_mul_lo_u32 v13, v3, v8
	v_mul_hi_u32 v14, v3, v8
	v_mul_hi_u32 v15, v7, v9
	v_mul_lo_u32 v9, v7, v9
	v_mul_hi_u32 v16, v7, v8
	v_mul_lo_u32 v8, v7, v8
	v_add_co_u32 v12, vcc_lo, v12, v13
	v_add_co_ci_u32_e32 v13, vcc_lo, 0, v14, vcc_lo
	s_delay_alu instid0(VALU_DEP_2) | instskip(NEXT) | instid1(VALU_DEP_2)
	v_add_co_u32 v9, vcc_lo, v12, v9
	v_add_co_ci_u32_e32 v9, vcc_lo, v13, v15, vcc_lo
	v_add_co_ci_u32_e32 v12, vcc_lo, 0, v16, vcc_lo
	s_delay_alu instid0(VALU_DEP_2) | instskip(NEXT) | instid1(VALU_DEP_2)
	v_add_co_u32 v8, vcc_lo, v9, v8
	v_add_co_ci_u32_e32 v9, vcc_lo, 0, v12, vcc_lo
	s_delay_alu instid0(VALU_DEP_2) | instskip(NEXT) | instid1(VALU_DEP_2)
	v_add_co_u32 v3, vcc_lo, v3, v8
	v_add_co_ci_u32_e32 v9, vcc_lo, v7, v9, vcc_lo
	s_delay_alu instid0(VALU_DEP_2) | instskip(SKIP_1) | instid1(VALU_DEP_3)
	v_mul_hi_u32 v16, v10, v3
	v_mad_u64_u32 v[12:13], null, v11, v3, 0
	v_mad_u64_u32 v[7:8], null, v10, v9, 0
	v_mad_u64_u32 v[14:15], null, v11, v9, 0
	s_delay_alu instid0(VALU_DEP_2) | instskip(NEXT) | instid1(VALU_DEP_3)
	v_add_co_u32 v3, vcc_lo, v16, v7
	v_add_co_ci_u32_e32 v7, vcc_lo, 0, v8, vcc_lo
	s_delay_alu instid0(VALU_DEP_2) | instskip(NEXT) | instid1(VALU_DEP_2)
	v_add_co_u32 v3, vcc_lo, v3, v12
	v_add_co_ci_u32_e32 v3, vcc_lo, v7, v13, vcc_lo
	v_add_co_ci_u32_e32 v7, vcc_lo, 0, v15, vcc_lo
	s_delay_alu instid0(VALU_DEP_2) | instskip(NEXT) | instid1(VALU_DEP_2)
	v_add_co_u32 v3, vcc_lo, v3, v14
	v_add_co_ci_u32_e32 v9, vcc_lo, 0, v7, vcc_lo
	s_delay_alu instid0(VALU_DEP_2) | instskip(SKIP_1) | instid1(VALU_DEP_3)
	v_mul_lo_u32 v12, s25, v3
	v_mad_u64_u32 v[7:8], null, s24, v3, 0
	v_mul_lo_u32 v13, s24, v9
	s_delay_alu instid0(VALU_DEP_2) | instskip(NEXT) | instid1(VALU_DEP_2)
	v_sub_co_u32 v7, vcc_lo, v10, v7
	v_add3_u32 v8, v8, v13, v12
	s_delay_alu instid0(VALU_DEP_1) | instskip(NEXT) | instid1(VALU_DEP_1)
	v_sub_nc_u32_e32 v12, v11, v8
	v_subrev_co_ci_u32_e64 v12, s2, s25, v12, vcc_lo
	v_add_co_u32 v13, s2, v3, 2
	s_delay_alu instid0(VALU_DEP_1) | instskip(SKIP_3) | instid1(VALU_DEP_3)
	v_add_co_ci_u32_e64 v14, s2, 0, v9, s2
	v_sub_co_u32 v15, s2, v7, s24
	v_sub_co_ci_u32_e32 v8, vcc_lo, v11, v8, vcc_lo
	v_subrev_co_ci_u32_e64 v12, s2, 0, v12, s2
	v_cmp_le_u32_e32 vcc_lo, s24, v15
	s_delay_alu instid0(VALU_DEP_3) | instskip(SKIP_1) | instid1(VALU_DEP_4)
	v_cmp_eq_u32_e64 s2, s25, v8
	v_cndmask_b32_e64 v15, 0, -1, vcc_lo
	v_cmp_le_u32_e32 vcc_lo, s25, v12
	v_cndmask_b32_e64 v16, 0, -1, vcc_lo
	v_cmp_le_u32_e32 vcc_lo, s24, v7
	;; [unrolled: 2-line block ×3, first 2 shown]
	v_cndmask_b32_e64 v17, 0, -1, vcc_lo
	v_cmp_eq_u32_e32 vcc_lo, s25, v12
	s_delay_alu instid0(VALU_DEP_2) | instskip(SKIP_3) | instid1(VALU_DEP_3)
	v_cndmask_b32_e64 v7, v17, v7, s2
	v_cndmask_b32_e32 v12, v16, v15, vcc_lo
	v_add_co_u32 v15, vcc_lo, v3, 1
	v_add_co_ci_u32_e32 v16, vcc_lo, 0, v9, vcc_lo
	v_cmp_ne_u32_e32 vcc_lo, 0, v12
	s_delay_alu instid0(VALU_DEP_2) | instskip(NEXT) | instid1(VALU_DEP_4)
	v_cndmask_b32_e32 v8, v16, v14, vcc_lo
	v_cndmask_b32_e32 v12, v15, v13, vcc_lo
	v_cmp_ne_u32_e32 vcc_lo, 0, v7
	s_delay_alu instid0(VALU_DEP_3) | instskip(NEXT) | instid1(VALU_DEP_3)
	v_cndmask_b32_e32 v9, v9, v8, vcc_lo
	v_cndmask_b32_e32 v8, v3, v12, vcc_lo
.LBB0_4:                                ;   in Loop: Header=BB0_2 Depth=1
	s_and_not1_saveexec_b32 s2, s3
	s_cbranch_execz .LBB0_6
; %bb.5:                                ;   in Loop: Header=BB0_2 Depth=1
	v_cvt_f32_u32_e32 v3, s24
	s_sub_i32 s3, 0, s24
	s_delay_alu instid0(VALU_DEP_1) | instskip(SKIP_2) | instid1(VALU_DEP_1)
	v_rcp_iflag_f32_e32 v3, v3
	s_waitcnt_depctr 0xfff
	v_mul_f32_e32 v3, 0x4f7ffffe, v3
	v_cvt_u32_f32_e32 v3, v3
	s_delay_alu instid0(VALU_DEP_1) | instskip(NEXT) | instid1(VALU_DEP_1)
	v_mul_lo_u32 v7, s3, v3
	v_mul_hi_u32 v7, v3, v7
	s_delay_alu instid0(VALU_DEP_1) | instskip(NEXT) | instid1(VALU_DEP_1)
	v_add_nc_u32_e32 v3, v3, v7
	v_mul_hi_u32 v3, v10, v3
	s_delay_alu instid0(VALU_DEP_1) | instskip(NEXT) | instid1(VALU_DEP_1)
	v_mul_lo_u32 v7, v3, s24
	v_sub_nc_u32_e32 v7, v10, v7
	s_delay_alu instid0(VALU_DEP_1) | instskip(SKIP_1) | instid1(VALU_DEP_2)
	v_subrev_nc_u32_e32 v9, s24, v7
	v_cmp_le_u32_e32 vcc_lo, s24, v7
	v_dual_cndmask_b32 v7, v7, v9 :: v_dual_add_nc_u32 v8, 1, v3
	s_delay_alu instid0(VALU_DEP_1) | instskip(SKIP_1) | instid1(VALU_DEP_3)
	v_cndmask_b32_e32 v3, v3, v8, vcc_lo
	v_mov_b32_e32 v9, v6
	v_cmp_le_u32_e32 vcc_lo, s24, v7
	s_delay_alu instid0(VALU_DEP_3) | instskip(NEXT) | instid1(VALU_DEP_1)
	v_add_nc_u32_e32 v8, 1, v3
	v_cndmask_b32_e32 v8, v3, v8, vcc_lo
.LBB0_6:                                ;   in Loop: Header=BB0_2 Depth=1
	s_or_b32 exec_lo, exec_lo, s2
	v_mul_lo_u32 v3, v9, s24
	s_delay_alu instid0(VALU_DEP_2)
	v_mul_lo_u32 v7, v8, s25
	s_load_b64 s[2:3], s[14:15], 0x0
	v_mad_u64_u32 v[12:13], null, v8, s24, 0
	s_load_b64 s[24:25], s[12:13], 0x0
	s_add_u32 s22, s22, 1
	s_addc_u32 s23, s23, 0
	s_add_u32 s12, s12, 8
	s_addc_u32 s13, s13, 0
	s_add_u32 s14, s14, 8
	s_delay_alu instid0(VALU_DEP_1) | instskip(SKIP_3) | instid1(VALU_DEP_2)
	v_add3_u32 v3, v13, v7, v3
	v_sub_co_u32 v7, vcc_lo, v10, v12
	s_addc_u32 s15, s15, 0
	s_add_u32 s20, s20, 8
	v_sub_co_ci_u32_e32 v3, vcc_lo, v11, v3, vcc_lo
	s_addc_u32 s21, s21, 0
	s_waitcnt lgkmcnt(0)
	s_delay_alu instid0(VALU_DEP_1)
	v_mul_lo_u32 v14, s2, v3
	v_mul_lo_u32 v15, s3, v7
	v_mad_u64_u32 v[10:11], null, s2, v7, v[1:2]
	v_mul_lo_u32 v3, s24, v3
	v_mul_lo_u32 v16, s25, v7
	v_mad_u64_u32 v[12:13], null, s24, v7, v[4:5]
	v_cmp_ge_u64_e64 s2, s[22:23], s[10:11]
	v_add3_u32 v2, v15, v11, v14
	s_delay_alu instid0(VALU_DEP_3) | instskip(NEXT) | instid1(VALU_DEP_4)
	v_dual_mov_b32 v1, v10 :: v_dual_mov_b32 v4, v12
	v_add3_u32 v5, v16, v13, v3
	s_delay_alu instid0(VALU_DEP_4)
	s_and_b32 vcc_lo, exec_lo, s2
	s_cbranch_vccnz .LBB0_9
; %bb.7:                                ;   in Loop: Header=BB0_2 Depth=1
	v_dual_mov_b32 v11, v9 :: v_dual_mov_b32 v10, v8
	s_branch .LBB0_2
.LBB0_8:
	v_dual_mov_b32 v5, v2 :: v_dual_mov_b32 v4, v1
	v_dual_mov_b32 v8, v10 :: v_dual_mov_b32 v9, v11
.LBB0_9:
	s_load_b64 s[0:1], s[0:1], 0x28
	v_mul_hi_u32 v3, 0x12f684c, v0
	s_lshl_b64 s[10:11], s[10:11], 3
                                        ; implicit-def: $vgpr6
                                        ; implicit-def: $vgpr10_vgpr11
	s_delay_alu instid0(SALU_CYCLE_1) | instskip(SKIP_4) | instid1(VALU_DEP_1)
	s_add_u32 s2, s18, s10
	s_addc_u32 s3, s19, s11
	s_waitcnt lgkmcnt(0)
	v_cmp_gt_u64_e32 vcc_lo, s[0:1], v[8:9]
	v_cmp_le_u64_e64 s0, s[0:1], v[8:9]
	s_and_saveexec_b32 s1, s0
	s_delay_alu instid0(SALU_CYCLE_1)
	s_xor_b32 s0, exec_lo, s1
; %bb.10:
	v_mul_u32_u24_e32 v1, 0xd8, v3
	v_mov_b32_e32 v7, 0
                                        ; implicit-def: $vgpr3
	s_delay_alu instid0(VALU_DEP_2) | instskip(NEXT) | instid1(VALU_DEP_2)
	v_sub_nc_u32_e32 v6, v0, v1
	v_mov_b32_e32 v11, v7
                                        ; implicit-def: $vgpr0
                                        ; implicit-def: $vgpr1_vgpr2
	s_delay_alu instid0(VALU_DEP_2)
	v_mov_b32_e32 v10, v6
; %bb.11:
	s_or_saveexec_b32 s1, s0
	s_load_b64 s[2:3], s[2:3], 0x0
	s_xor_b32 exec_lo, exec_lo, s1
	s_cbranch_execz .LBB0_15
; %bb.12:
	s_add_u32 s10, s16, s10
	s_addc_u32 s11, s17, s11
	v_mul_u32_u24_e32 v3, 0xd8, v3
	s_load_b64 s[10:11], s[10:11], 0x0
	v_lshlrev_b64 v[1:2], 4, v[1:2]
	s_waitcnt lgkmcnt(0)
	v_mul_lo_u32 v10, s11, v8
	v_mul_lo_u32 v11, s10, v9
	v_mad_u64_u32 v[6:7], null, s10, v8, 0
	s_delay_alu instid0(VALU_DEP_1) | instskip(NEXT) | instid1(VALU_DEP_1)
	v_add3_u32 v7, v7, v11, v10
	v_lshlrev_b64 v[10:11], 4, v[6:7]
	v_sub_nc_u32_e32 v6, v0, v3
	s_delay_alu instid0(VALU_DEP_1) | instskip(NEXT) | instid1(VALU_DEP_3)
	v_dual_mov_b32 v7, 0 :: v_dual_lshlrev_b32 v60, 4, v6
	v_add_co_u32 v0, s0, s4, v10
	s_delay_alu instid0(VALU_DEP_1) | instskip(SKIP_1) | instid1(VALU_DEP_2)
	v_add_co_ci_u32_e64 v3, s0, s5, v11, s0
	s_mov_b32 s4, exec_lo
	v_add_co_u32 v0, s0, v0, v1
	s_delay_alu instid0(VALU_DEP_1) | instskip(NEXT) | instid1(VALU_DEP_2)
	v_add_co_ci_u32_e64 v1, s0, v3, v2, s0
	v_add_co_u32 v2, s0, v0, v60
	s_delay_alu instid0(VALU_DEP_1) | instskip(SKIP_4) | instid1(VALU_DEP_1)
	v_add_co_ci_u32_e64 v3, s0, 0, v1, s0
	s_clause 0x1
	global_load_b128 v[12:15], v[2:3], off
	global_load_b128 v[16:19], v[2:3], off offset:3456
	v_add_co_u32 v10, s0, 0x1000, v2
	v_add_co_ci_u32_e64 v11, s0, 0, v3, s0
	v_add_co_u32 v24, s0, 0x2000, v2
	s_delay_alu instid0(VALU_DEP_1) | instskip(SKIP_1) | instid1(VALU_DEP_1)
	v_add_co_ci_u32_e64 v25, s0, 0, v3, s0
	v_add_co_u32 v28, s0, 0x3000, v2
	v_add_co_ci_u32_e64 v29, s0, 0, v3, s0
	v_add_co_u32 v32, s0, 0x4000, v2
	s_delay_alu instid0(VALU_DEP_1) | instskip(SKIP_1) | instid1(VALU_DEP_1)
	v_add_co_ci_u32_e64 v33, s0, 0, v3, s0
	v_add_co_u32 v40, s0, 0x5000, v2
	v_add_co_ci_u32_e64 v41, s0, 0, v3, s0
	v_add_co_u32 v44, s0, 0x6000, v2
	s_delay_alu instid0(VALU_DEP_1) | instskip(SKIP_1) | instid1(VALU_DEP_1)
	v_add_co_ci_u32_e64 v45, s0, 0, v3, s0
	v_add_co_u32 v48, s0, 0x7000, v2
	v_add_co_ci_u32_e64 v49, s0, 0, v3, s0
	v_add_co_u32 v52, s0, 0x8000, v2
	s_delay_alu instid0(VALU_DEP_1)
	v_add_co_ci_u32_e64 v53, s0, 0, v3, s0
	v_add_co_u32 v2, s0, 0x9000, v2
	s_clause 0x3
	global_load_b128 v[20:23], v[10:11], off offset:2816
	global_load_b128 v[24:27], v[24:25], off offset:2176
	;; [unrolled: 1-line block ×4, first 2 shown]
	v_add_co_ci_u32_e64 v3, s0, 0, v3, s0
	s_clause 0x5
	global_load_b128 v[36:39], v[40:41], off offset:256
	global_load_b128 v[40:43], v[40:41], off offset:3712
	;; [unrolled: 1-line block ×6, first 2 shown]
	v_dual_mov_b32 v11, v7 :: v_dual_add_nc_u32 v2, 0, v60
	v_mov_b32_e32 v10, v6
	s_waitcnt vmcnt(11)
	ds_store_b128 v2, v[12:15]
	s_waitcnt vmcnt(10)
	ds_store_b128 v2, v[16:19] offset:3456
	s_waitcnt vmcnt(9)
	ds_store_b128 v2, v[20:23] offset:6912
	;; [unrolled: 2-line block ×11, first 2 shown]
	v_cmpx_eq_u32_e32 0xd7, v6
	s_cbranch_execz .LBB0_14
; %bb.13:
	v_add_co_u32 v0, s0, 0xa000, v0
	s_delay_alu instid0(VALU_DEP_1)
	v_add_co_ci_u32_e64 v1, s0, 0, v1, s0
	v_mov_b32_e32 v10, 0xd7
	v_dual_mov_b32 v11, 0 :: v_dual_mov_b32 v6, 0xd7
	global_load_b128 v[0:3], v[0:1], off offset:512
	s_waitcnt vmcnt(0)
	ds_store_b128 v7, v[0:3] offset:41472
.LBB0_14:
	s_or_b32 exec_lo, exec_lo, s4
.LBB0_15:
	s_delay_alu instid0(SALU_CYCLE_1)
	s_or_b32 exec_lo, exec_lo, s1
	v_lshlrev_b32_e32 v0, 4, v6
	s_waitcnt lgkmcnt(0)
	s_barrier
	buffer_gl0_inv
	v_lshlrev_b64 v[10:11], 4, v[10:11]
	v_add_nc_u32_e32 v16, 0, v0
	v_sub_nc_u32_e32 v17, 0, v0
	s_add_u32 s1, s8, 0xa1a0
	s_addc_u32 s4, s9, 0
	s_mov_b32 s5, exec_lo
	ds_load_b64 v[12:13], v16
	ds_load_b64 v[14:15], v17 offset:41472
	s_waitcnt lgkmcnt(0)
	v_add_f64 v[0:1], v[12:13], v[14:15]
	v_add_f64 v[2:3], v[12:13], -v[14:15]
	v_cmpx_ne_u32_e32 0, v6
	s_xor_b32 s5, exec_lo, s5
	s_cbranch_execz .LBB0_17
; %bb.16:
	v_add_co_u32 v0, s0, s1, v10
	s_delay_alu instid0(VALU_DEP_1)
	v_add_co_ci_u32_e64 v1, s0, s4, v11, s0
	v_add_f64 v[22:23], v[12:13], v[14:15]
	v_add_f64 v[24:25], v[12:13], -v[14:15]
	global_load_b128 v[18:21], v[0:1], off
	ds_load_b64 v[0:1], v17 offset:41480
	ds_load_b64 v[2:3], v16 offset:8
	s_waitcnt lgkmcnt(0)
	v_add_f64 v[12:13], v[0:1], v[2:3]
	v_add_f64 v[0:1], v[2:3], -v[0:1]
	s_waitcnt vmcnt(0)
	v_fma_f64 v[2:3], v[24:25], v[20:21], v[22:23]
	v_fma_f64 v[14:15], -v[24:25], v[20:21], v[22:23]
	s_delay_alu instid0(VALU_DEP_3) | instskip(SKIP_1) | instid1(VALU_DEP_4)
	v_fma_f64 v[22:23], v[12:13], v[20:21], -v[0:1]
	v_fma_f64 v[20:21], v[12:13], v[20:21], v[0:1]
	v_fma_f64 v[0:1], -v[12:13], v[18:19], v[2:3]
	s_delay_alu instid0(VALU_DEP_4) | instskip(NEXT) | instid1(VALU_DEP_4)
	v_fma_f64 v[12:13], v[12:13], v[18:19], v[14:15]
	v_fma_f64 v[14:15], v[24:25], v[18:19], v[22:23]
	s_delay_alu instid0(VALU_DEP_4)
	v_fma_f64 v[2:3], v[24:25], v[18:19], v[20:21]
	ds_store_b128 v17, v[12:15] offset:41472
.LBB0_17:
	s_and_not1_saveexec_b32 s0, s5
	s_cbranch_execz .LBB0_19
; %bb.18:
	v_mov_b32_e32 v7, 0
	ds_load_b128 v[12:15], v7 offset:20736
	s_waitcnt lgkmcnt(0)
	v_add_f64 v[12:13], v[12:13], v[12:13]
	v_mul_f64 v[14:15], v[14:15], -2.0
	ds_store_b128 v7, v[12:15] offset:20736
.LBB0_19:
	s_or_b32 exec_lo, exec_lo, s0
	v_mov_b32_e32 v7, 0
	ds_store_b128 v16, v[0:3]
	v_lshlrev_b64 v[12:13], 4, v[6:7]
	s_delay_alu instid0(VALU_DEP_1) | instskip(NEXT) | instid1(VALU_DEP_1)
	v_add_co_u32 v14, s0, s1, v12
	v_add_co_ci_u32_e64 v15, s0, s4, v13, s0
	s_mov_b32 s4, 0xe8584caa
	s_delay_alu instid0(VALU_DEP_2) | instskip(SKIP_3) | instid1(VALU_DEP_1)
	v_add_co_u32 v22, s0, 0x1000, v14
	global_load_b128 v[18:21], v[14:15], off offset:3456
	v_add_co_ci_u32_e64 v23, s0, 0, v15, s0
	v_add_co_u32 v30, s0, 0x2000, v14
	v_add_co_ci_u32_e64 v31, s0, 0, v15, s0
	global_load_b128 v[22:25], v[22:23], off offset:2816
	ds_load_b128 v[0:3], v16 offset:3456
	ds_load_b128 v[26:29], v17 offset:38016
	s_mov_b32 s5, 0xbfebb67a
	global_load_b128 v[30:33], v[30:31], off offset:2176
	s_mov_b32 s1, 0x3febb67a
	s_waitcnt lgkmcnt(0)
	v_add_f64 v[34:35], v[0:1], v[26:27]
	v_add_f64 v[36:37], v[28:29], v[2:3]
	v_add_f64 v[38:39], v[0:1], -v[26:27]
	v_add_f64 v[0:1], v[2:3], -v[28:29]
	s_waitcnt vmcnt(2)
	s_delay_alu instid0(VALU_DEP_2) | instskip(NEXT) | instid1(VALU_DEP_2)
	v_fma_f64 v[2:3], v[38:39], v[20:21], v[34:35]
	v_fma_f64 v[26:27], v[36:37], v[20:21], v[0:1]
	v_fma_f64 v[28:29], -v[38:39], v[20:21], v[34:35]
	v_fma_f64 v[20:21], v[36:37], v[20:21], -v[0:1]
	s_delay_alu instid0(VALU_DEP_4) | instskip(NEXT) | instid1(VALU_DEP_4)
	v_fma_f64 v[0:1], -v[36:37], v[18:19], v[2:3]
	v_fma_f64 v[2:3], v[38:39], v[18:19], v[26:27]
	s_delay_alu instid0(VALU_DEP_4) | instskip(NEXT) | instid1(VALU_DEP_4)
	v_fma_f64 v[26:27], v[36:37], v[18:19], v[28:29]
	v_fma_f64 v[28:29], v[38:39], v[18:19], v[20:21]
	ds_store_b128 v16, v[0:3] offset:3456
	ds_store_b128 v17, v[26:29] offset:38016
	ds_load_b128 v[0:3], v16 offset:6912
	ds_load_b128 v[18:21], v17 offset:34560
	v_add_co_u32 v26, s0, 0x3000, v14
	s_delay_alu instid0(VALU_DEP_1) | instskip(SKIP_1) | instid1(VALU_DEP_1)
	v_add_co_ci_u32_e64 v27, s0, 0, v15, s0
	v_add_co_u32 v14, s0, 0x4000, v14
	v_add_co_ci_u32_e64 v15, s0, 0, v15, s0
	global_load_b128 v[26:29], v[26:27], off offset:1536
	s_mov_b32 s0, s4
	s_waitcnt lgkmcnt(0)
	v_add_f64 v[34:35], v[0:1], v[18:19]
	v_add_f64 v[36:37], v[20:21], v[2:3]
	v_add_f64 v[38:39], v[0:1], -v[18:19]
	v_add_f64 v[0:1], v[2:3], -v[20:21]
	s_waitcnt vmcnt(2)
	s_delay_alu instid0(VALU_DEP_2) | instskip(NEXT) | instid1(VALU_DEP_2)
	v_fma_f64 v[2:3], v[38:39], v[24:25], v[34:35]
	v_fma_f64 v[18:19], v[36:37], v[24:25], v[0:1]
	v_fma_f64 v[20:21], -v[38:39], v[24:25], v[34:35]
	v_fma_f64 v[24:25], v[36:37], v[24:25], -v[0:1]
	s_delay_alu instid0(VALU_DEP_4) | instskip(NEXT) | instid1(VALU_DEP_4)
	v_fma_f64 v[0:1], -v[36:37], v[22:23], v[2:3]
	v_fma_f64 v[2:3], v[38:39], v[22:23], v[18:19]
	s_delay_alu instid0(VALU_DEP_4) | instskip(NEXT) | instid1(VALU_DEP_4)
	v_fma_f64 v[18:19], v[36:37], v[22:23], v[20:21]
	v_fma_f64 v[20:21], v[38:39], v[22:23], v[24:25]
	ds_store_b128 v16, v[0:3] offset:6912
	ds_store_b128 v17, v[18:21] offset:34560
	ds_load_b128 v[0:3], v16 offset:10368
	ds_load_b128 v[18:21], v17 offset:31104
	global_load_b128 v[22:25], v[14:15], off offset:896
	s_waitcnt lgkmcnt(0)
	v_add_f64 v[14:15], v[0:1], v[18:19]
	v_add_f64 v[34:35], v[20:21], v[2:3]
	v_add_f64 v[36:37], v[0:1], -v[18:19]
	v_add_f64 v[0:1], v[2:3], -v[20:21]
	s_waitcnt vmcnt(2)
	s_delay_alu instid0(VALU_DEP_2) | instskip(NEXT) | instid1(VALU_DEP_2)
	v_fma_f64 v[2:3], v[36:37], v[32:33], v[14:15]
	v_fma_f64 v[18:19], v[34:35], v[32:33], v[0:1]
	v_fma_f64 v[14:15], -v[36:37], v[32:33], v[14:15]
	v_fma_f64 v[20:21], v[34:35], v[32:33], -v[0:1]
	s_delay_alu instid0(VALU_DEP_4) | instskip(NEXT) | instid1(VALU_DEP_4)
	v_fma_f64 v[0:1], -v[34:35], v[30:31], v[2:3]
	v_fma_f64 v[2:3], v[36:37], v[30:31], v[18:19]
	s_delay_alu instid0(VALU_DEP_4) | instskip(NEXT) | instid1(VALU_DEP_4)
	v_fma_f64 v[18:19], v[34:35], v[30:31], v[14:15]
	v_fma_f64 v[20:21], v[36:37], v[30:31], v[20:21]
	ds_store_b128 v16, v[0:3] offset:10368
	ds_store_b128 v17, v[18:21] offset:31104
	ds_load_b128 v[0:3], v16 offset:13824
	ds_load_b128 v[18:21], v17 offset:27648
	s_waitcnt lgkmcnt(0)
	v_add_f64 v[14:15], v[0:1], v[18:19]
	v_add_f64 v[30:31], v[20:21], v[2:3]
	v_add_f64 v[32:33], v[0:1], -v[18:19]
	v_add_f64 v[0:1], v[2:3], -v[20:21]
	s_waitcnt vmcnt(1)
	s_delay_alu instid0(VALU_DEP_2) | instskip(NEXT) | instid1(VALU_DEP_2)
	v_fma_f64 v[2:3], v[32:33], v[28:29], v[14:15]
	v_fma_f64 v[18:19], v[30:31], v[28:29], v[0:1]
	v_fma_f64 v[14:15], -v[32:33], v[28:29], v[14:15]
	v_fma_f64 v[20:21], v[30:31], v[28:29], -v[0:1]
	s_delay_alu instid0(VALU_DEP_4) | instskip(NEXT) | instid1(VALU_DEP_4)
	v_fma_f64 v[0:1], -v[30:31], v[26:27], v[2:3]
	v_fma_f64 v[2:3], v[32:33], v[26:27], v[18:19]
	s_delay_alu instid0(VALU_DEP_4) | instskip(NEXT) | instid1(VALU_DEP_4)
	v_fma_f64 v[18:19], v[30:31], v[26:27], v[14:15]
	v_fma_f64 v[20:21], v[32:33], v[26:27], v[20:21]
	ds_store_b128 v16, v[0:3] offset:13824
	ds_store_b128 v17, v[18:21] offset:27648
	ds_load_b128 v[0:3], v16 offset:17280
	ds_load_b128 v[18:21], v17 offset:24192
	s_waitcnt lgkmcnt(0)
	v_add_f64 v[14:15], v[0:1], v[18:19]
	v_add_f64 v[26:27], v[20:21], v[2:3]
	v_add_f64 v[28:29], v[0:1], -v[18:19]
	v_add_f64 v[0:1], v[2:3], -v[20:21]
	s_waitcnt vmcnt(0)
	s_delay_alu instid0(VALU_DEP_2) | instskip(NEXT) | instid1(VALU_DEP_2)
	v_fma_f64 v[2:3], v[28:29], v[24:25], v[14:15]
	v_fma_f64 v[18:19], v[26:27], v[24:25], v[0:1]
	v_fma_f64 v[14:15], -v[28:29], v[24:25], v[14:15]
	v_fma_f64 v[20:21], v[26:27], v[24:25], -v[0:1]
	s_delay_alu instid0(VALU_DEP_4) | instskip(NEXT) | instid1(VALU_DEP_4)
	v_fma_f64 v[0:1], -v[26:27], v[22:23], v[2:3]
	v_fma_f64 v[2:3], v[28:29], v[22:23], v[18:19]
	s_delay_alu instid0(VALU_DEP_4) | instskip(NEXT) | instid1(VALU_DEP_4)
	v_fma_f64 v[18:19], v[26:27], v[22:23], v[14:15]
	v_fma_f64 v[20:21], v[28:29], v[22:23], v[20:21]
	ds_store_b128 v16, v[0:3] offset:17280
	ds_store_b128 v17, v[18:21] offset:24192
	s_waitcnt lgkmcnt(0)
	s_barrier
	buffer_gl0_inv
	s_barrier
	buffer_gl0_inv
	ds_load_b128 v[0:3], v16 offset:34560
	ds_load_b128 v[17:20], v16 offset:20736
	ds_load_b128 v[21:24], v16 offset:24192
	ds_load_b128 v[25:28], v16 offset:38016
	ds_load_b128 v[29:32], v16 offset:6912
	ds_load_b128 v[33:36], v16 offset:10368
	s_waitcnt lgkmcnt(4)
	v_add_f64 v[14:15], v[19:20], v[2:3]
	v_add_f64 v[53:54], v[17:18], v[0:1]
	s_waitcnt lgkmcnt(2)
	v_add_f64 v[37:38], v[23:24], v[27:28]
	v_add_f64 v[55:56], v[17:18], -v[0:1]
	v_add_f64 v[57:58], v[21:22], v[25:26]
	v_add_f64 v[61:62], v[21:22], -v[25:26]
	v_add_f64 v[69:70], v[19:20], -v[2:3]
	;; [unrolled: 1-line block ×3, first 2 shown]
	s_waitcnt lgkmcnt(1)
	v_add_f64 v[17:18], v[29:30], v[17:18]
	v_add_f64 v[19:20], v[31:32], v[19:20]
	s_waitcnt lgkmcnt(0)
	v_add_f64 v[21:22], v[33:34], v[21:22]
	v_add_f64 v[23:24], v[35:36], v[23:24]
	v_fma_f64 v[14:15], v[14:15], -0.5, v[31:32]
	v_fma_f64 v[71:72], v[53:54], -0.5, v[29:30]
	;; [unrolled: 1-line block ×3, first 2 shown]
	ds_load_b128 v[37:40], v16 offset:27648
	ds_load_b128 v[41:44], v16 offset:13824
	;; [unrolled: 1-line block ×4, first 2 shown]
	v_fma_f64 v[81:82], v[57:58], -0.5, v[33:34]
	ds_load_b128 v[57:60], v16 offset:3456
	v_add_f64 v[2:3], v[19:20], v[2:3]
	s_waitcnt lgkmcnt(3)
	v_add_f64 v[65:66], v[41:42], v[37:38]
	v_add_f64 v[67:68], v[43:44], v[39:40]
	s_waitcnt lgkmcnt(1)
	v_add_f64 v[75:76], v[45:46], v[49:50]
	v_add_f64 v[77:78], v[47:48], v[51:52]
	v_add_f64 v[85:86], v[43:44], -v[39:40]
	v_add_f64 v[31:32], v[47:48], -v[51:52]
	s_waitcnt lgkmcnt(0)
	v_add_f64 v[47:48], v[59:60], v[47:48]
	v_add_f64 v[29:30], v[57:58], v[45:46]
	v_add_f64 v[45:46], v[45:46], -v[49:50]
	v_fma_f64 v[73:74], v[55:56], s[0:1], v[14:15]
	v_fma_f64 v[14:15], v[55:56], s[4:5], v[14:15]
	;; [unrolled: 1-line block ×4, first 2 shown]
	ds_load_b128 v[53:56], v16
	s_waitcnt lgkmcnt(0)
	s_barrier
	buffer_gl0_inv
	v_fma_f64 v[57:58], v[75:76], -0.5, v[57:58]
	v_add_f64 v[63:64], v[53:54], v[41:42]
	v_add_f64 v[43:44], v[55:56], v[43:44]
	v_add_f64 v[41:42], v[41:42], -v[37:38]
	v_fma_f64 v[33:34], v[65:66], -0.5, v[53:54]
	v_fma_f64 v[35:36], v[67:68], -0.5, v[55:56]
	v_fma_f64 v[53:54], v[69:70], s[4:5], v[71:72]
	v_fma_f64 v[55:56], v[69:70], s[0:1], v[71:72]
	v_fma_f64 v[59:60], v[77:78], -0.5, v[59:60]
	v_fma_f64 v[71:72], v[79:80], s[4:5], v[81:82]
	v_add_f64 v[47:48], v[47:48], v[51:52]
	v_add_f64 v[51:52], v[23:24], v[27:28]
	;; [unrolled: 1-line block ×4, first 2 shown]
	v_mul_f64 v[65:66], v[73:74], s[4:5]
	v_mul_f64 v[69:70], v[73:74], 0.5
	v_mul_f64 v[67:68], v[14:15], s[4:5]
	v_mul_f64 v[14:15], v[14:15], -0.5
	v_fma_f64 v[73:74], v[79:80], s[0:1], v[81:82]
	v_mul_f64 v[75:76], v[83:84], s[4:5]
	v_mul_f64 v[79:80], v[83:84], 0.5
	v_mul_f64 v[77:78], v[61:62], s[4:5]
	v_mul_f64 v[61:62], v[61:62], -0.5
	v_add_f64 v[37:38], v[63:64], v[37:38]
	v_add_f64 v[39:40], v[43:44], v[39:40]
	;; [unrolled: 1-line block ×3, first 2 shown]
	v_fma_f64 v[63:64], v[85:86], s[4:5], v[33:34]
	v_fma_f64 v[81:82], v[85:86], s[0:1], v[33:34]
	;; [unrolled: 1-line block ×6, first 2 shown]
	v_add_f64 v[27:28], v[47:48], v[51:52]
	v_add_f64 v[25:26], v[29:30], v[49:50]
	v_add_f64 v[29:30], v[29:30], -v[49:50]
	v_fma_f64 v[41:42], v[53:54], 0.5, v[65:66]
	v_fma_f64 v[53:54], v[53:54], s[0:1], v[69:70]
	v_fma_f64 v[65:66], v[55:56], -0.5, v[67:68]
	v_fma_f64 v[55:56], v[55:56], s[0:1], v[14:15]
	v_fma_f64 v[67:68], v[31:32], s[4:5], v[57:58]
	;; [unrolled: 1-line block ×3, first 2 shown]
	v_fma_f64 v[57:58], v[71:72], 0.5, v[75:76]
	v_fma_f64 v[71:72], v[71:72], s[0:1], v[79:80]
	v_fma_f64 v[59:60], v[73:74], -0.5, v[77:78]
	v_fma_f64 v[73:74], v[73:74], s[0:1], v[61:62]
	v_and_b32_e32 v14, 0xff, v6
	v_add_f64 v[31:32], v[47:48], -v[51:52]
	s_delay_alu instid0(VALU_DEP_2) | instskip(SKIP_1) | instid1(VALU_DEP_2)
	v_mul_lo_u16 v0, 0xab, v14
	v_mul_lo_u16 v14, v14, 57
	v_lshrrev_b16 v1, 10, v0
	v_add_f64 v[19:20], v[39:40], v[2:3]
	v_add_f64 v[17:18], v[37:38], v[43:44]
	v_add_f64 v[21:22], v[37:38], -v[43:44]
	v_add_f64 v[23:24], v[39:40], -v[2:3]
	v_mul_lo_u16 v0, v1, 6
	v_mad_u32_u24 v2, 0x50, v6, v16
	s_delay_alu instid0(VALU_DEP_2)
	v_sub_nc_u16 v0, v6, v0
	v_add_f64 v[33:34], v[63:64], v[41:42]
	v_add_f64 v[35:36], v[83:84], v[53:54]
	;; [unrolled: 1-line block ×4, first 2 shown]
	v_add_f64 v[41:42], v[63:64], -v[41:42]
	v_add_f64 v[43:44], v[83:84], -v[53:54]
	;; [unrolled: 1-line block ×4, first 2 shown]
	v_add_f64 v[49:50], v[67:68], v[57:58]
	v_add_f64 v[51:52], v[87:88], v[71:72]
	;; [unrolled: 1-line block ×4, first 2 shown]
	v_add_f64 v[57:58], v[67:68], -v[57:58]
	v_add_f64 v[61:62], v[69:70], -v[59:60]
	;; [unrolled: 1-line block ×4, first 2 shown]
	v_and_b32_e32 v3, 0xff, v0
	ds_store_b128 v2, v[17:20]
	ds_store_b128 v2, v[33:36] offset:16
	ds_store_b128 v2, v[37:40] offset:32
	ds_store_b128 v2, v[21:24] offset:48
	ds_store_b128 v2, v[41:44] offset:64
	ds_store_b128 v2, v[45:48] offset:80
	ds_store_b128 v2, v[25:28] offset:20736
	ds_store_b128 v2, v[49:52] offset:20752
	ds_store_b128 v2, v[53:56] offset:20768
	ds_store_b128 v2, v[29:32] offset:20784
	ds_store_b128 v2, v[57:60] offset:20800
	ds_store_b128 v2, v[61:64] offset:20816
	v_mul_u32_u24_e32 v0, 5, v3
	s_waitcnt lgkmcnt(0)
	s_barrier
	buffer_gl0_inv
	v_lshlrev_b32_e32 v3, 4, v3
	v_lshlrev_b32_e32 v65, 4, v0
	s_clause 0x1
	global_load_b128 v[18:21], v65, s[8:9] offset:16
	global_load_b128 v[22:25], v65, s[8:9] offset:32
	v_add_nc_u32_e32 v0, 0xd8, v6
	s_clause 0x1
	global_load_b128 v[26:29], v65, s[8:9] offset:48
	global_load_b128 v[30:33], v65, s[8:9] offset:64
	v_and_b32_e32 v2, 0xffff, v0
	s_delay_alu instid0(VALU_DEP_1) | instskip(SKIP_1) | instid1(VALU_DEP_2)
	v_mul_u32_u24_e32 v15, 0xaaab, v2
	v_mul_u32_u24_e32 v2, 0xe38f, v2
	v_lshrrev_b32_e32 v15, 18, v15
	s_delay_alu instid0(VALU_DEP_2) | instskip(NEXT) | instid1(VALU_DEP_2)
	v_lshrrev_b32_e32 v2, 21, v2
	v_mul_lo_u16 v17, v15, 6
	v_mul_u32_u24_e32 v15, 0x240, v15
	s_delay_alu instid0(VALU_DEP_2) | instskip(NEXT) | instid1(VALU_DEP_1)
	v_sub_nc_u16 v17, v0, v17
	v_and_b32_e32 v17, 0xffff, v17
	s_delay_alu instid0(VALU_DEP_1) | instskip(SKIP_1) | instid1(VALU_DEP_2)
	v_mul_u32_u24_e32 v34, 5, v17
	v_lshlrev_b32_e32 v17, 4, v17
	v_lshlrev_b32_e32 v54, 4, v34
	s_clause 0x5
	global_load_b128 v[34:37], v54, s[8:9] offset:32
	global_load_b128 v[38:41], v54, s[8:9] offset:64
	global_load_b128 v[42:45], v65, s[8:9]
	global_load_b128 v[46:49], v54, s[8:9]
	global_load_b128 v[50:53], v54, s[8:9] offset:16
	global_load_b128 v[54:57], v54, s[8:9] offset:48
	ds_load_b128 v[58:61], v16 offset:13824
	ds_load_b128 v[62:65], v16 offset:17280
	ds_load_b128 v[66:69], v16 offset:20736
	ds_load_b128 v[70:73], v16 offset:27648
	ds_load_b128 v[74:77], v16 offset:24192
	ds_load_b128 v[82:85], v16 offset:34560
	ds_load_b128 v[78:81], v16 offset:31104
	v_add3_u32 v15, 0, v15, v17
	s_waitcnt vmcnt(9) lgkmcnt(6)
	v_mul_f64 v[86:87], v[60:61], v[20:21]
	v_mul_f64 v[20:21], v[58:59], v[20:21]
	s_waitcnt vmcnt(8) lgkmcnt(4)
	v_mul_f64 v[88:89], v[68:69], v[24:25]
	v_mul_f64 v[24:25], v[66:67], v[24:25]
	;; [unrolled: 3-line block ×3, first 2 shown]
	v_fma_f64 v[58:59], v[58:59], v[18:19], v[86:87]
	v_fma_f64 v[60:61], v[60:61], v[18:19], -v[20:21]
	ds_load_b128 v[18:21], v16 offset:38016
	s_waitcnt vmcnt(6) lgkmcnt(2)
	v_mul_f64 v[86:87], v[84:85], v[32:33]
	v_mul_f64 v[32:33], v[82:83], v[32:33]
	v_fma_f64 v[66:67], v[66:67], v[22:23], v[88:89]
	s_waitcnt vmcnt(5)
	v_mul_f64 v[88:89], v[74:75], v[36:37]
	v_fma_f64 v[68:69], v[68:69], v[22:23], -v[24:25]
	v_fma_f64 v[70:71], v[70:71], v[26:27], v[90:91]
	v_fma_f64 v[72:73], v[72:73], v[26:27], -v[28:29]
	ds_load_b128 v[22:25], v16 offset:6912
	ds_load_b128 v[26:29], v16 offset:10368
	v_mul_f64 v[36:37], v[76:77], v[36:37]
	s_waitcnt vmcnt(4) lgkmcnt(2)
	v_mul_f64 v[92:93], v[18:19], v[40:41]
	v_mul_f64 v[40:41], v[20:21], v[40:41]
	v_fma_f64 v[82:83], v[82:83], v[30:31], v[86:87]
	v_fma_f64 v[30:31], v[84:85], v[30:31], -v[32:33]
	s_waitcnt vmcnt(3) lgkmcnt(1)
	v_mul_f64 v[32:33], v[22:23], v[44:45]
	s_waitcnt vmcnt(2) lgkmcnt(0)
	v_mul_f64 v[84:85], v[26:27], v[48:49]
	v_fma_f64 v[76:77], v[76:77], v[34:35], -v[88:89]
	v_fma_f64 v[34:35], v[74:75], v[34:35], v[36:37]
	s_waitcnt vmcnt(1)
	v_mul_f64 v[36:37], v[64:65], v[52:53]
	v_fma_f64 v[86:87], v[20:21], v[38:39], -v[92:93]
	v_mul_f64 v[20:21], v[24:25], v[44:45]
	v_mul_f64 v[44:45], v[62:63], v[52:53]
	s_waitcnt vmcnt(0)
	v_mul_f64 v[52:53], v[80:81], v[56:57]
	v_fma_f64 v[38:39], v[18:19], v[38:39], v[40:41]
	v_mul_f64 v[18:19], v[78:79], v[56:57]
	v_mul_f64 v[40:41], v[28:29], v[48:49]
	v_add_f64 v[56:57], v[60:61], v[72:73]
	v_add_f64 v[92:93], v[60:61], -v[72:73]
	v_fma_f64 v[32:33], v[24:25], v[42:43], -v[32:33]
	v_add_f64 v[24:25], v[68:69], v[30:31]
	v_fma_f64 v[28:29], v[28:29], v[46:47], -v[84:85]
	v_fma_f64 v[36:37], v[62:63], v[50:51], v[36:37]
	v_add_f64 v[62:63], v[68:69], -v[30:31]
	v_add_f64 v[48:49], v[76:77], v[86:87]
	v_fma_f64 v[42:43], v[22:23], v[42:43], v[20:21]
	v_add_f64 v[20:21], v[66:67], v[82:83]
	v_add_f64 v[22:23], v[66:67], -v[82:83]
	v_fma_f64 v[44:45], v[64:65], v[50:51], -v[44:45]
	v_fma_f64 v[50:51], v[78:79], v[54:55], v[52:53]
	v_fma_f64 v[52:53], v[80:81], v[54:55], -v[18:19]
	v_fma_f64 v[26:27], v[26:27], v[46:47], v[40:41]
	v_add_f64 v[40:41], v[34:35], v[38:39]
	v_add_f64 v[46:47], v[34:35], -v[38:39]
	v_add_f64 v[54:55], v[58:59], v[70:71]
	v_add_f64 v[88:89], v[76:77], -v[86:87]
	v_fma_f64 v[24:25], v[24:25], -0.5, v[32:33]
	v_add_f64 v[32:33], v[32:33], v[68:69]
	v_fma_f64 v[48:49], v[48:49], -0.5, v[28:29]
	v_add_f64 v[28:29], v[28:29], v[76:77]
	v_fma_f64 v[64:65], v[20:21], -0.5, v[42:43]
	ds_load_b128 v[18:21], v16
	v_add_f64 v[42:43], v[42:43], v[66:67]
	v_add_f64 v[80:81], v[36:37], v[50:51]
	;; [unrolled: 1-line block ×3, first 2 shown]
	v_add_f64 v[68:69], v[44:45], -v[52:53]
	v_fma_f64 v[40:41], v[40:41], -0.5, v[26:27]
	v_add_f64 v[26:27], v[26:27], v[34:35]
	v_fma_f64 v[74:75], v[22:23], s[0:1], v[24:25]
	v_fma_f64 v[78:79], v[22:23], s[4:5], v[24:25]
	ds_load_b128 v[22:25], v16 offset:3456
	s_waitcnt lgkmcnt(1)
	v_add_f64 v[60:61], v[20:21], v[60:61]
	v_fma_f64 v[20:21], v[56:57], -0.5, v[20:21]
	v_add_f64 v[30:31], v[32:33], v[30:31]
	s_waitcnt lgkmcnt(0)
	s_barrier
	buffer_gl0_inv
	v_fma_f64 v[90:91], v[46:47], s[0:1], v[48:49]
	v_fma_f64 v[46:47], v[46:47], s[4:5], v[48:49]
	v_add_f64 v[48:49], v[18:19], v[58:59]
	v_add_f64 v[58:59], v[58:59], -v[70:71]
	v_fma_f64 v[18:19], v[54:55], -0.5, v[18:19]
	v_fma_f64 v[34:35], v[62:63], s[4:5], v[64:65]
	v_add_f64 v[44:45], v[24:25], v[44:45]
	v_fma_f64 v[54:55], v[62:63], s[0:1], v[64:65]
	v_add_f64 v[66:67], v[22:23], v[36:37]
	v_add_f64 v[36:37], v[36:37], -v[50:51]
	v_fma_f64 v[22:23], v[80:81], -0.5, v[22:23]
	v_fma_f64 v[24:25], v[84:85], -0.5, v[24:25]
	v_fma_f64 v[76:77], v[88:89], s[4:5], v[40:41]
	v_fma_f64 v[40:41], v[88:89], s[0:1], v[40:41]
	v_add_f64 v[42:43], v[42:43], v[82:83]
	v_add_f64 v[38:39], v[26:27], v[38:39]
	v_mul_f64 v[56:57], v[74:75], s[4:5]
	v_mul_f64 v[64:65], v[74:75], 0.5
	v_mul_f64 v[62:63], v[78:79], s[4:5]
	v_mul_f64 v[74:75], v[78:79], -0.5
	v_add_f64 v[60:61], v[60:61], v[72:73]
	v_mul_f64 v[78:79], v[90:91], s[4:5]
	v_mul_f64 v[84:85], v[90:91], 0.5
	v_mul_f64 v[80:81], v[46:47], s[4:5]
	v_mul_f64 v[46:47], v[46:47], -0.5
	v_add_f64 v[48:49], v[48:49], v[70:71]
	v_fma_f64 v[70:71], v[58:59], s[0:1], v[20:21]
	v_add_f64 v[44:45], v[44:45], v[52:53]
	v_fma_f64 v[52:53], v[92:93], s[4:5], v[18:19]
	;; [unrolled: 2-line block ×3, first 2 shown]
	v_fma_f64 v[58:59], v[58:59], s[4:5], v[20:21]
	v_add_f64 v[50:51], v[28:29], v[86:87]
	v_fma_f64 v[72:73], v[68:69], s[4:5], v[22:23]
	v_fma_f64 v[68:69], v[68:69], s[0:1], v[22:23]
	v_fma_f64 v[82:83], v[36:37], s[4:5], v[24:25]
	v_lshrrev_b16 v91, 11, v14
	s_delay_alu instid0(VALU_DEP_1)
	v_mul_lo_u16 v14, v91, 36
	v_fma_f64 v[56:57], v[34:35], 0.5, v[56:57]
	v_fma_f64 v[64:65], v[34:35], s[0:1], v[64:65]
	v_fma_f64 v[62:63], v[54:55], -0.5, v[62:63]
	v_fma_f64 v[54:55], v[54:55], s[0:1], v[74:75]
	v_fma_f64 v[74:75], v[36:37], s[0:1], v[24:25]
	v_add_f64 v[20:21], v[60:61], v[30:31]
	v_add_f64 v[24:25], v[60:61], -v[30:31]
	v_sub_nc_u16 v14, v6, v14
	v_fma_f64 v[78:79], v[76:77], 0.5, v[78:79]
	v_fma_f64 v[76:77], v[76:77], s[0:1], v[84:85]
	v_fma_f64 v[80:81], v[40:41], -0.5, v[80:81]
	v_fma_f64 v[84:85], v[40:41], s[0:1], v[46:47]
	v_add_f64 v[18:19], v[48:49], v[42:43]
	v_add_f64 v[22:23], v[48:49], -v[42:43]
	v_add_f64 v[26:27], v[32:33], v[38:39]
	v_add_f64 v[30:31], v[32:33], -v[38:39]
	;; [unrolled: 2-line block ×3, first 2 shown]
	v_add_f64 v[34:35], v[52:53], v[56:57]
	v_add_f64 v[36:37], v[70:71], v[64:65]
	;; [unrolled: 1-line block ×4, first 2 shown]
	v_add_f64 v[42:43], v[52:53], -v[56:57]
	v_add_f64 v[44:45], v[70:71], -v[64:65]
	;; [unrolled: 1-line block ×4, first 2 shown]
	v_and_b32_e32 v66, 0xffff, v1
	v_and_b32_e32 v1, 0xff, v14
	s_delay_alu instid0(VALU_DEP_2) | instskip(NEXT) | instid1(VALU_DEP_2)
	v_mul_u32_u24_e32 v14, 0x240, v66
	v_mul_u32_u24_e32 v66, 5, v1
	v_lshlrev_b32_e32 v1, 4, v1
	v_add_f64 v[50:51], v[72:73], v[78:79]
	v_add_f64 v[52:53], v[74:75], v[76:77]
	;; [unrolled: 1-line block ×4, first 2 shown]
	v_add_f64 v[58:59], v[72:73], -v[78:79]
	v_add_f64 v[60:61], v[74:75], -v[76:77]
	;; [unrolled: 1-line block ×4, first 2 shown]
	v_add3_u32 v3, 0, v14, v3
	v_lshlrev_b32_e32 v14, 4, v66
	ds_store_b128 v3, v[18:21]
	ds_store_b128 v3, v[34:37] offset:96
	ds_store_b128 v3, v[38:41] offset:192
	;; [unrolled: 1-line block ×5, first 2 shown]
	ds_store_b128 v15, v[26:29]
	ds_store_b128 v15, v[50:53] offset:96
	ds_store_b128 v15, v[54:57] offset:192
	;; [unrolled: 1-line block ×5, first 2 shown]
	s_waitcnt lgkmcnt(0)
	s_barrier
	buffer_gl0_inv
	s_clause 0x1
	global_load_b128 v[17:20], v14, s[8:9] offset:496
	global_load_b128 v[21:24], v14, s[8:9] offset:512
	v_mul_lo_u16 v3, v2, 36
	s_clause 0x1
	global_load_b128 v[25:28], v14, s[8:9] offset:528
	global_load_b128 v[29:32], v14, s[8:9] offset:544
	v_mul_u32_u24_e32 v2, 0xd80, v2
	v_sub_nc_u16 v0, v0, v3
	s_delay_alu instid0(VALU_DEP_1) | instskip(NEXT) | instid1(VALU_DEP_1)
	v_and_b32_e32 v0, 0xffff, v0
	v_mul_u32_u24_e32 v3, 5, v0
	v_lshlrev_b32_e32 v0, 4, v0
	s_delay_alu instid0(VALU_DEP_2)
	v_lshlrev_b32_e32 v3, 4, v3
	s_clause 0x5
	global_load_b128 v[33:36], v3, s[8:9] offset:512
	global_load_b128 v[37:40], v3, s[8:9] offset:544
	;; [unrolled: 1-line block ×6, first 2 shown]
	ds_load_b128 v[57:60], v16 offset:13824
	ds_load_b128 v[61:64], v16 offset:17280
	;; [unrolled: 1-line block ×7, first 2 shown]
	v_and_b32_e32 v3, 0xffff, v91
	v_add3_u32 v0, 0, v2, v0
	s_delay_alu instid0(VALU_DEP_2) | instskip(NEXT) | instid1(VALU_DEP_1)
	v_mul_u32_u24_e32 v3, 0xd80, v3
	v_add3_u32 v1, 0, v3, v1
	s_waitcnt vmcnt(9) lgkmcnt(6)
	v_mul_f64 v[14:15], v[59:60], v[19:20]
	v_mul_f64 v[19:20], v[57:58], v[19:20]
	s_waitcnt vmcnt(8) lgkmcnt(4)
	v_mul_f64 v[85:86], v[67:68], v[23:24]
	v_mul_f64 v[23:24], v[65:66], v[23:24]
	;; [unrolled: 3-line block ×3, first 2 shown]
	v_fma_f64 v[14:15], v[57:58], v[17:18], v[14:15]
	v_fma_f64 v[57:58], v[59:60], v[17:18], -v[19:20]
	ds_load_b128 v[17:20], v16 offset:38016
	s_waitcnt vmcnt(6) lgkmcnt(2)
	v_mul_f64 v[59:60], v[77:78], v[31:32]
	v_mul_f64 v[31:32], v[79:80], v[31:32]
	v_fma_f64 v[65:66], v[65:66], v[21:22], v[85:86]
	v_fma_f64 v[67:68], v[67:68], v[21:22], -v[23:24]
	ds_load_b128 v[21:24], v16 offset:6912
	s_waitcnt vmcnt(5)
	v_mul_f64 v[85:86], v[73:74], v[35:36]
	v_fma_f64 v[69:70], v[69:70], v[25:26], v[87:88]
	v_fma_f64 v[71:72], v[71:72], v[25:26], -v[27:28]
	ds_load_b128 v[25:28], v16 offset:10368
	v_mul_f64 v[35:36], v[75:76], v[35:36]
	s_waitcnt vmcnt(4) lgkmcnt(2)
	v_mul_f64 v[89:90], v[17:18], v[39:40]
	s_waitcnt vmcnt(3) lgkmcnt(1)
	v_mul_f64 v[87:88], v[21:22], v[43:44]
	v_fma_f64 v[59:60], v[79:80], v[29:30], -v[59:60]
	v_fma_f64 v[29:30], v[77:78], v[29:30], v[31:32]
	v_mul_f64 v[31:32], v[19:20], v[39:40]
	s_waitcnt vmcnt(2) lgkmcnt(0)
	v_mul_f64 v[39:40], v[25:26], v[47:48]
	v_fma_f64 v[75:76], v[75:76], v[33:34], -v[85:86]
	v_fma_f64 v[33:34], v[73:74], v[33:34], v[35:36]
	s_waitcnt vmcnt(1)
	v_mul_f64 v[35:36], v[61:62], v[51:52]
	v_fma_f64 v[77:78], v[19:20], v[37:38], -v[89:90]
	v_mul_f64 v[19:20], v[23:24], v[43:44]
	v_mul_f64 v[43:44], v[63:64], v[51:52]
	s_waitcnt vmcnt(0)
	v_mul_f64 v[51:52], v[83:84], v[55:56]
	v_mul_f64 v[55:56], v[81:82], v[55:56]
	v_fma_f64 v[79:80], v[23:24], v[41:42], -v[87:88]
	v_add_f64 v[89:90], v[57:58], -v[71:72]
	v_add_f64 v[23:24], v[67:68], v[59:60]
	v_fma_f64 v[31:32], v[17:18], v[37:38], v[31:32]
	v_mul_f64 v[17:18], v[27:28], v[47:48]
	v_fma_f64 v[27:28], v[27:28], v[45:46], -v[39:40]
	v_fma_f64 v[35:36], v[63:64], v[49:50], -v[35:36]
	v_add_f64 v[37:38], v[75:76], v[77:78]
	v_fma_f64 v[39:40], v[21:22], v[41:42], v[19:20]
	v_add_f64 v[19:20], v[65:66], v[29:30]
	v_add_f64 v[21:22], v[65:66], -v[29:30]
	v_fma_f64 v[41:42], v[61:62], v[49:50], v[43:44]
	v_fma_f64 v[43:44], v[81:82], v[53:54], v[51:52]
	v_fma_f64 v[47:48], v[83:84], v[53:54], -v[55:56]
	v_add_f64 v[51:52], v[14:15], v[69:70]
	v_add_f64 v[53:54], v[57:58], v[71:72]
	v_add_f64 v[55:56], v[67:68], -v[59:60]
	v_add_f64 v[85:86], v[75:76], -v[77:78]
	v_fma_f64 v[23:24], v[23:24], -0.5, v[79:80]
	v_add_f64 v[49:50], v[33:34], -v[31:32]
	v_fma_f64 v[25:26], v[25:26], v[45:46], v[17:18]
	v_add_f64 v[45:46], v[33:34], v[31:32]
	v_fma_f64 v[37:38], v[37:38], -0.5, v[27:28]
	v_add_f64 v[27:28], v[27:28], v[75:76]
	v_fma_f64 v[61:62], v[19:20], -0.5, v[39:40]
	ds_load_b128 v[17:20], v16
	v_add_f64 v[39:40], v[39:40], v[65:66]
	v_add_f64 v[81:82], v[41:42], v[43:44]
	;; [unrolled: 1-line block ×4, first 2 shown]
	v_add_f64 v[79:80], v[35:36], -v[47:48]
	v_fma_f64 v[63:64], v[21:22], s[0:1], v[23:24]
	v_fma_f64 v[73:74], v[21:22], s[4:5], v[23:24]
	ds_load_b128 v[21:24], v16 offset:3456
	s_waitcnt lgkmcnt(0)
	v_fma_f64 v[45:46], v[45:46], -0.5, v[25:26]
	v_add_f64 v[57:58], v[19:20], v[57:58]
	v_add_f64 v[25:26], v[25:26], v[33:34]
	v_fma_f64 v[19:20], v[53:54], -0.5, v[19:20]
	s_barrier
	buffer_gl0_inv
	v_fma_f64 v[87:88], v[49:50], s[0:1], v[37:38]
	v_fma_f64 v[37:38], v[49:50], s[4:5], v[37:38]
	v_add_f64 v[49:50], v[17:18], v[14:15]
	v_add_f64 v[14:15], v[14:15], -v[69:70]
	v_add_f64 v[67:68], v[21:22], v[41:42]
	v_add_f64 v[35:36], v[23:24], v[35:36]
	v_fma_f64 v[17:18], v[51:52], -0.5, v[17:18]
	v_fma_f64 v[33:34], v[55:56], s[4:5], v[61:62]
	v_fma_f64 v[51:52], v[55:56], s[0:1], v[61:62]
	v_add_f64 v[41:42], v[41:42], -v[43:44]
	v_fma_f64 v[21:22], v[81:82], -0.5, v[21:22]
	v_fma_f64 v[23:24], v[83:84], -0.5, v[23:24]
	v_add_f64 v[29:30], v[39:40], v[29:30]
	v_add_f64 v[39:40], v[65:66], v[59:60]
	v_mul_f64 v[53:54], v[63:64], s[4:5]
	v_mul_f64 v[61:62], v[63:64], 0.5
	v_mul_f64 v[55:56], v[73:74], s[4:5]
	v_mul_f64 v[63:64], v[73:74], -0.5
	v_fma_f64 v[73:74], v[85:86], s[4:5], v[45:46]
	v_fma_f64 v[45:46], v[85:86], s[0:1], v[45:46]
	v_add_f64 v[57:58], v[57:58], v[71:72]
	v_add_f64 v[31:32], v[25:26], v[31:32]
	v_mul_f64 v[75:76], v[87:88], s[4:5]
	v_mul_f64 v[83:84], v[87:88], 0.5
	v_mul_f64 v[81:82], v[37:38], s[4:5]
	v_mul_f64 v[37:38], v[37:38], -0.5
	v_add_f64 v[49:50], v[49:50], v[69:70]
	v_add_f64 v[43:44], v[67:68], v[43:44]
	;; [unrolled: 1-line block ×4, first 2 shown]
	v_fma_f64 v[59:60], v[89:90], s[4:5], v[17:18]
	v_fma_f64 v[67:68], v[14:15], s[0:1], v[19:20]
	;; [unrolled: 1-line block ×7, first 2 shown]
	v_fma_f64 v[53:54], v[33:34], 0.5, v[53:54]
	v_fma_f64 v[61:62], v[33:34], s[0:1], v[61:62]
	v_fma_f64 v[55:56], v[51:52], -0.5, v[55:56]
	v_fma_f64 v[51:52], v[51:52], s[0:1], v[63:64]
	v_fma_f64 v[63:64], v[79:80], s[4:5], v[21:22]
	v_add_f64 v[19:20], v[57:58], v[39:40]
	v_add_f64 v[23:24], v[57:58], -v[39:40]
	v_fma_f64 v[75:76], v[73:74], 0.5, v[75:76]
	v_fma_f64 v[73:74], v[73:74], s[0:1], v[83:84]
	v_fma_f64 v[79:80], v[45:46], -0.5, v[81:82]
	v_fma_f64 v[81:82], v[45:46], s[0:1], v[37:38]
	v_add_f64 v[17:18], v[49:50], v[29:30]
	v_add_f64 v[21:22], v[49:50], -v[29:30]
	v_add_f64 v[25:26], v[43:44], v[31:32]
	v_add_f64 v[27:28], v[35:36], v[47:48]
	v_add_f64 v[29:30], v[43:44], -v[31:32]
	v_add_f64 v[31:32], v[35:36], -v[47:48]
	v_add_f64 v[33:34], v[59:60], v[53:54]
	v_add_f64 v[35:36], v[67:68], v[61:62]
	;; [unrolled: 1-line block ×4, first 2 shown]
	v_add_f64 v[41:42], v[59:60], -v[53:54]
	v_add_f64 v[43:44], v[67:68], -v[61:62]
	;; [unrolled: 1-line block ×4, first 2 shown]
	v_mul_u32_u24_e32 v14, 5, v6
	s_delay_alu instid0(VALU_DEP_1)
	v_lshlrev_b32_e32 v14, 4, v14
	v_add_f64 v[49:50], v[63:64], v[75:76]
	v_add_f64 v[51:52], v[71:72], v[73:74]
	;; [unrolled: 1-line block ×4, first 2 shown]
	v_add_f64 v[57:58], v[63:64], -v[75:76]
	v_add_f64 v[59:60], v[71:72], -v[73:74]
	;; [unrolled: 1-line block ×4, first 2 shown]
	ds_store_b128 v1, v[17:20]
	ds_store_b128 v1, v[33:36] offset:576
	ds_store_b128 v1, v[37:40] offset:1152
	;; [unrolled: 1-line block ×5, first 2 shown]
	ds_store_b128 v0, v[25:28]
	ds_store_b128 v0, v[49:52] offset:576
	ds_store_b128 v0, v[53:56] offset:1152
	;; [unrolled: 1-line block ×5, first 2 shown]
	s_waitcnt lgkmcnt(0)
	s_barrier
	buffer_gl0_inv
	s_clause 0x4
	global_load_b128 v[0:3], v14, s[8:9] offset:3392
	global_load_b128 v[17:20], v14, s[8:9] offset:3424
	;; [unrolled: 1-line block ×5, first 2 shown]
	ds_load_b128 v[33:36], v16 offset:20736
	ds_load_b128 v[37:40], v16 offset:34560
	;; [unrolled: 1-line block ×6, first 2 shown]
	s_waitcnt vmcnt(4) lgkmcnt(5)
	v_mul_f64 v[14:15], v[33:34], v[2:3]
	s_waitcnt vmcnt(3) lgkmcnt(4)
	v_mul_f64 v[57:58], v[37:38], v[19:20]
	s_waitcnt lgkmcnt(3)
	v_mul_f64 v[59:60], v[41:42], v[2:3]
	s_waitcnt lgkmcnt(2)
	v_mul_f64 v[61:62], v[45:46], v[19:20]
	v_mul_f64 v[73:74], v[35:36], v[2:3]
	;; [unrolled: 1-line block ×3, first 2 shown]
	s_waitcnt vmcnt(2) lgkmcnt(1)
	v_mul_f64 v[77:78], v[49:50], v[23:24]
	v_mul_f64 v[2:3], v[43:44], v[2:3]
	v_mul_f64 v[19:20], v[47:48], v[19:20]
	v_mul_f64 v[79:80], v[51:52], v[23:24]
	v_fma_f64 v[14:15], v[35:36], v[0:1], -v[14:15]
	v_fma_f64 v[35:36], v[39:40], v[17:18], -v[57:58]
	s_waitcnt lgkmcnt(0)
	v_mul_f64 v[39:40], v[53:54], v[23:24]
	v_fma_f64 v[43:44], v[43:44], v[0:1], -v[59:60]
	v_fma_f64 v[47:48], v[47:48], v[17:18], -v[61:62]
	ds_load_b128 v[57:60], v16 offset:13824
	ds_load_b128 v[61:64], v16 offset:27648
	;; [unrolled: 1-line block ×4, first 2 shown]
	v_fma_f64 v[33:34], v[33:34], v[0:1], v[73:74]
	v_fma_f64 v[37:38], v[37:38], v[17:18], v[75:76]
	v_fma_f64 v[51:52], v[51:52], v[21:22], -v[77:78]
	v_fma_f64 v[41:42], v[41:42], v[0:1], v[2:3]
	v_fma_f64 v[45:46], v[45:46], v[17:18], v[19:20]
	v_mul_f64 v[17:18], v[55:56], v[23:24]
	v_fma_f64 v[49:50], v[49:50], v[21:22], v[79:80]
	s_waitcnt vmcnt(1) lgkmcnt(3)
	v_mul_f64 v[81:82], v[59:60], v[27:28]
	v_mul_f64 v[73:74], v[57:58], v[27:28]
	s_waitcnt vmcnt(0) lgkmcnt(2)
	v_mul_f64 v[83:84], v[63:64], v[31:32]
	v_mul_f64 v[75:76], v[61:62], v[31:32]
	s_waitcnt lgkmcnt(1)
	v_mul_f64 v[85:86], v[67:68], v[27:28]
	v_mul_f64 v[2:3], v[65:66], v[27:28]
	s_waitcnt lgkmcnt(0)
	v_mul_f64 v[27:28], v[71:72], v[31:32]
	v_mul_f64 v[31:32], v[69:70], v[31:32]
	v_add_f64 v[0:1], v[14:15], v[35:36]
	v_fma_f64 v[23:24], v[55:56], v[21:22], -v[39:40]
	v_add_f64 v[19:20], v[43:44], v[47:48]
	v_add_f64 v[79:80], v[43:44], -v[47:48]
	v_fma_f64 v[21:22], v[53:54], v[21:22], v[17:18]
	v_add_f64 v[17:18], v[41:42], v[45:46]
	v_fma_f64 v[39:40], v[57:58], v[25:26], v[81:82]
	v_fma_f64 v[55:56], v[59:60], v[25:26], -v[73:74]
	v_fma_f64 v[57:58], v[61:62], v[29:30], v[83:84]
	v_fma_f64 v[59:60], v[63:64], v[29:30], -v[75:76]
	v_add_f64 v[61:62], v[33:34], v[37:38]
	v_add_f64 v[63:64], v[33:34], -v[37:38]
	v_fma_f64 v[65:66], v[65:66], v[25:26], v[85:86]
	v_fma_f64 v[25:26], v[67:68], v[25:26], -v[2:3]
	v_fma_f64 v[27:28], v[69:70], v[29:30], v[27:28]
	v_fma_f64 v[29:30], v[71:72], v[29:30], -v[31:32]
	v_add_f64 v[31:32], v[41:42], -v[45:46]
	v_add_f64 v[71:72], v[14:15], -v[35:36]
	v_add_f64 v[33:34], v[49:50], v[33:34]
	v_add_f64 v[14:15], v[51:52], v[14:15]
	v_fma_f64 v[0:1], v[0:1], -0.5, v[51:52]
	v_fma_f64 v[53:54], v[19:20], -0.5, v[23:24]
	v_add_f64 v[23:24], v[23:24], v[43:44]
	v_fma_f64 v[81:82], v[17:18], -0.5, v[21:22]
	ds_load_b128 v[17:20], v16 offset:3456
	v_add_f64 v[21:22], v[21:22], v[41:42]
	v_add_f64 v[67:68], v[39:40], v[57:58]
	;; [unrolled: 1-line block ×3, first 2 shown]
	v_fma_f64 v[61:62], v[61:62], -0.5, v[49:50]
	v_add_f64 v[85:86], v[55:56], -v[59:60]
	v_add_f64 v[75:76], v[65:66], v[27:28]
	v_add_f64 v[77:78], v[25:26], v[29:30]
	v_add_f64 v[51:52], v[25:26], -v[29:30]
	s_waitcnt lgkmcnt(0)
	v_add_f64 v[49:50], v[17:18], v[65:66]
	v_add_f64 v[25:26], v[19:20], v[25:26]
	v_add_f64 v[65:66], v[65:66], -v[27:28]
	v_add_f64 v[33:34], v[33:34], v[37:38]
	v_add_f64 v[14:15], v[14:15], v[35:36]
	v_fma_f64 v[73:74], v[63:64], s[0:1], v[0:1]
	v_fma_f64 v[63:64], v[63:64], s[4:5], v[0:1]
	ds_load_b128 v[0:3], v16
	v_fma_f64 v[83:84], v[31:32], s[0:1], v[53:54]
	v_fma_f64 v[31:32], v[31:32], s[4:5], v[53:54]
	v_add_f64 v[35:36], v[23:24], v[47:48]
	s_waitcnt lgkmcnt(0)
	s_barrier
	buffer_gl0_inv
	v_add_f64 v[53:54], v[0:1], v[39:40]
	v_add_f64 v[55:56], v[2:3], v[55:56]
	v_add_f64 v[39:40], v[39:40], -v[57:58]
	v_fma_f64 v[0:1], v[67:68], -0.5, v[0:1]
	v_fma_f64 v[2:3], v[69:70], -0.5, v[2:3]
	v_fma_f64 v[41:42], v[71:72], s[4:5], v[61:62]
	v_fma_f64 v[43:44], v[71:72], s[0:1], v[61:62]
	v_fma_f64 v[17:18], v[75:76], -0.5, v[17:18]
	v_fma_f64 v[19:20], v[77:78], -0.5, v[19:20]
	v_fma_f64 v[71:72], v[79:80], s[4:5], v[81:82]
	v_add_f64 v[27:28], v[49:50], v[27:28]
	v_add_f64 v[29:30], v[25:26], v[29:30]
	;; [unrolled: 1-line block ×3, first 2 shown]
	v_mul_f64 v[61:62], v[73:74], s[4:5]
	v_mul_f64 v[69:70], v[73:74], 0.5
	v_mul_f64 v[67:68], v[63:64], s[4:5]
	v_mul_f64 v[63:64], v[63:64], -0.5
	v_fma_f64 v[73:74], v[79:80], s[0:1], v[81:82]
	v_mul_f64 v[75:76], v[83:84], s[4:5]
	v_mul_f64 v[79:80], v[83:84], 0.5
	v_mul_f64 v[77:78], v[31:32], s[4:5]
	v_mul_f64 v[31:32], v[31:32], -0.5
	v_add_f64 v[53:54], v[53:54], v[57:58]
	v_add_f64 v[55:56], v[55:56], v[59:60]
	v_fma_f64 v[37:38], v[85:86], s[4:5], v[0:1]
	v_fma_f64 v[47:48], v[39:40], s[0:1], v[2:3]
	;; [unrolled: 1-line block ×4, first 2 shown]
	v_add_f64 v[23:24], v[29:30], v[35:36]
	v_add_f64 v[21:22], v[27:28], v[25:26]
	v_add_f64 v[25:26], v[27:28], -v[25:26]
	v_add_f64 v[27:28], v[29:30], -v[35:36]
	v_fma_f64 v[39:40], v[41:42], 0.5, v[61:62]
	v_fma_f64 v[59:60], v[41:42], s[0:1], v[69:70]
	v_fma_f64 v[57:58], v[43:44], -0.5, v[67:68]
	v_fma_f64 v[43:44], v[43:44], s[0:1], v[63:64]
	v_fma_f64 v[61:62], v[51:52], s[4:5], v[17:18]
	v_fma_f64 v[67:68], v[65:66], s[0:1], v[19:20]
	v_fma_f64 v[69:70], v[71:72], 0.5, v[75:76]
	v_fma_f64 v[71:72], v[71:72], s[0:1], v[79:80]
	v_fma_f64 v[63:64], v[51:52], s[0:1], v[17:18]
	;; [unrolled: 1-line block ×3, first 2 shown]
	v_fma_f64 v[75:76], v[73:74], -0.5, v[77:78]
	v_fma_f64 v[73:74], v[73:74], s[0:1], v[31:32]
	v_add_co_u32 v10, s0, s8, v10
	s_delay_alu instid0(VALU_DEP_1)
	v_add_co_ci_u32_e64 v11, s0, s9, v11, s0
	v_add_f64 v[0:1], v[53:54], v[33:34]
	v_add_f64 v[2:3], v[55:56], v[14:15]
	v_add_f64 v[17:18], v[53:54], -v[33:34]
	v_add_f64 v[19:20], v[55:56], -v[14:15]
	v_add_f64 v[29:30], v[37:38], v[39:40]
	v_add_f64 v[31:32], v[47:48], v[59:60]
	;; [unrolled: 1-line block ×4, first 2 shown]
	v_add_f64 v[37:38], v[37:38], -v[39:40]
	v_add_f64 v[39:40], v[47:48], -v[59:60]
	;; [unrolled: 1-line block ×4, first 2 shown]
	v_add_f64 v[45:46], v[61:62], v[69:70]
	v_add_f64 v[47:48], v[67:68], v[71:72]
	;; [unrolled: 1-line block ×4, first 2 shown]
	v_add_f64 v[53:54], v[61:62], -v[69:70]
	v_add_f64 v[55:56], v[67:68], -v[71:72]
	;; [unrolled: 1-line block ×4, first 2 shown]
	v_add_co_u32 v65, s0, s8, v12
	s_delay_alu instid0(VALU_DEP_1) | instskip(SKIP_1) | instid1(VALU_DEP_1)
	v_add_co_ci_u32_e64 v66, s0, s9, v13, s0
	v_add_co_u32 v10, s0, 0x5000, v10
	v_add_co_ci_u32_e64 v11, s0, 0, v11, s0
	s_delay_alu instid0(VALU_DEP_4) | instskip(NEXT) | instid1(VALU_DEP_1)
	v_add_co_u32 v12, s0, 0x5000, v65
	v_add_co_ci_u32_e64 v13, s0, 0, v66, s0
	v_add_co_u32 v14, s0, 0x6000, v65
	s_delay_alu instid0(VALU_DEP_1) | instskip(SKIP_1) | instid1(VALU_DEP_1)
	v_add_co_ci_u32_e64 v15, s0, 0, v66, s0
	v_add_co_u32 v61, s0, 0x7000, v65
	v_add_co_ci_u32_e64 v62, s0, 0, v66, s0
	v_add_co_u32 v63, s0, 0x8000, v65
	s_delay_alu instid0(VALU_DEP_1)
	v_add_co_ci_u32_e64 v64, s0, 0, v66, s0
	ds_store_b128 v16, v[0:3]
	ds_store_b128 v16, v[29:32] offset:3456
	ds_store_b128 v16, v[33:36] offset:6912
	;; [unrolled: 1-line block ×11, first 2 shown]
	s_waitcnt lgkmcnt(0)
	s_barrier
	buffer_gl0_inv
	s_clause 0x2
	global_load_b128 v[0:3], v[10:11], off offset:160
	global_load_b128 v[10:13], v[12:13], off offset:3616
	;; [unrolled: 1-line block ×3, first 2 shown]
	v_add_co_u32 v14, s0, 0x9000, v65
	s_delay_alu instid0(VALU_DEP_1)
	v_add_co_ci_u32_e64 v15, s0, 0, v66, s0
	s_clause 0x2
	global_load_b128 v[21:24], v[61:62], off offset:2336
	global_load_b128 v[25:28], v[63:64], off offset:1696
	;; [unrolled: 1-line block ×3, first 2 shown]
	ds_load_b128 v[33:36], v16 offset:20736
	ds_load_b128 v[37:40], v16 offset:24192
	;; [unrolled: 1-line block ×6, first 2 shown]
	s_waitcnt vmcnt(5) lgkmcnt(5)
	v_mul_f64 v[14:15], v[35:36], v[2:3]
	v_mul_f64 v[2:3], v[33:34], v[2:3]
	s_waitcnt vmcnt(4) lgkmcnt(4)
	v_mul_f64 v[57:58], v[39:40], v[12:13]
	v_mul_f64 v[12:13], v[37:38], v[12:13]
	;; [unrolled: 3-line block ×6, first 2 shown]
	v_fma_f64 v[14:15], v[33:34], v[0:1], v[14:15]
	v_fma_f64 v[35:36], v[35:36], v[0:1], -v[2:3]
	v_fma_f64 v[37:38], v[37:38], v[10:11], v[57:58]
	v_fma_f64 v[39:40], v[39:40], v[10:11], -v[12:13]
	;; [unrolled: 2-line block ×6, first 2 shown]
	ds_load_b128 v[0:3], v16
	ds_load_b128 v[10:13], v16 offset:3456
	ds_load_b128 v[17:20], v16 offset:6912
	;; [unrolled: 1-line block ×5, first 2 shown]
	s_waitcnt lgkmcnt(0)
	s_barrier
	buffer_gl0_inv
	v_add_f64 v[33:34], v[0:1], -v[14:15]
	v_add_f64 v[35:36], v[2:3], -v[35:36]
	;; [unrolled: 1-line block ×12, first 2 shown]
	v_fma_f64 v[0:1], v[0:1], 2.0, -v[33:34]
	v_fma_f64 v[2:3], v[2:3], 2.0, -v[35:36]
	;; [unrolled: 1-line block ×12, first 2 shown]
	ds_store_b128 v16, v[33:36] offset:20736
	ds_store_b128 v16, v[37:40] offset:24192
	;; [unrolled: 1-line block ×6, first 2 shown]
	ds_store_b128 v16, v[0:3]
	ds_store_b128 v16, v[10:13] offset:3456
	ds_store_b128 v16, v[17:20] offset:6912
	;; [unrolled: 1-line block ×5, first 2 shown]
	s_waitcnt lgkmcnt(0)
	s_barrier
	buffer_gl0_inv
	s_and_saveexec_b32 s0, vcc_lo
	s_cbranch_execz .LBB0_21
; %bb.20:
	v_mul_lo_u32 v2, s3, v8
	v_mul_lo_u32 v3, s2, v9
	v_mad_u64_u32 v[0:1], null, s2, v8, 0
	v_lshl_add_u32 v36, v6, 4, 0
	v_lshlrev_b64 v[4:5], 4, v[4:5]
	v_dual_mov_b32 v15, v7 :: v_dual_add_nc_u32 v14, 0xd8, v6
	v_lshlrev_b64 v[12:13], 4, v[6:7]
	v_dual_mov_b32 v19, v7 :: v_dual_add_nc_u32 v18, 0x1b0, v6
	v_add3_u32 v1, v1, v3, v2
	v_dual_mov_b32 v25, v7 :: v_dual_add_nc_u32 v24, 0x438, v6
	v_dual_mov_b32 v27, v7 :: v_dual_add_nc_u32 v26, 0x510, v6
	s_delay_alu instid0(VALU_DEP_3)
	v_lshlrev_b64 v[16:17], 4, v[0:1]
	ds_load_b128 v[0:3], v36
	ds_load_b128 v[8:11], v36 offset:3456
	v_lshlrev_b64 v[24:25], 4, v[24:25]
	v_add_co_u32 v16, vcc_lo, s6, v16
	v_add_co_ci_u32_e32 v17, vcc_lo, s7, v17, vcc_lo
	s_delay_alu instid0(VALU_DEP_2) | instskip(NEXT) | instid1(VALU_DEP_2)
	v_add_co_u32 v37, vcc_lo, v16, v4
	v_add_co_ci_u32_e32 v38, vcc_lo, v17, v5, vcc_lo
	v_lshlrev_b64 v[4:5], 4, v[14:15]
	s_delay_alu instid0(VALU_DEP_3) | instskip(NEXT) | instid1(VALU_DEP_3)
	v_add_co_u32 v12, vcc_lo, v37, v12
	v_add_co_ci_u32_e32 v13, vcc_lo, v38, v13, vcc_lo
	v_lshlrev_b64 v[14:15], 4, v[18:19]
	s_delay_alu instid0(VALU_DEP_4)
	v_add_co_u32 v4, vcc_lo, v37, v4
	v_add_co_ci_u32_e32 v5, vcc_lo, v38, v5, vcc_lo
	s_waitcnt lgkmcnt(1)
	global_store_b128 v[12:13], v[0:3], off
	s_waitcnt lgkmcnt(0)
	global_store_b128 v[4:5], v[8:11], off
	v_dual_mov_b32 v13, v7 :: v_dual_add_nc_u32 v12, 0x360, v6
	ds_load_b128 v[0:3], v36 offset:6912
	ds_load_b128 v[8:11], v36 offset:10368
	v_dual_mov_b32 v5, v7 :: v_dual_add_nc_u32 v4, 0x288, v6
	v_add_co_u32 v20, vcc_lo, v37, v14
	v_add_co_ci_u32_e32 v21, vcc_lo, v38, v15, vcc_lo
	v_lshlrev_b64 v[22:23], 4, v[12:13]
	ds_load_b128 v[12:15], v36 offset:13824
	ds_load_b128 v[16:19], v36 offset:17280
	v_lshlrev_b64 v[4:5], 4, v[4:5]
	s_delay_alu instid0(VALU_DEP_1) | instskip(NEXT) | instid1(VALU_DEP_2)
	v_add_co_u32 v4, vcc_lo, v37, v4
	v_add_co_ci_u32_e32 v5, vcc_lo, v38, v5, vcc_lo
	v_add_co_u32 v22, vcc_lo, v37, v22
	v_add_co_ci_u32_e32 v23, vcc_lo, v38, v23, vcc_lo
	v_add_co_u32 v24, vcc_lo, v37, v24
	s_waitcnt lgkmcnt(3)
	global_store_b128 v[20:21], v[0:3], off
	s_waitcnt lgkmcnt(2)
	global_store_b128 v[4:5], v[8:11], off
	v_dual_mov_b32 v3, v7 :: v_dual_add_nc_u32 v2, 0x5e8, v6
	v_add_co_ci_u32_e32 v25, vcc_lo, v38, v25, vcc_lo
	v_lshlrev_b64 v[0:1], 4, v[26:27]
	s_waitcnt lgkmcnt(1)
	global_store_b128 v[22:23], v[12:15], off
	s_waitcnt lgkmcnt(0)
	global_store_b128 v[24:25], v[16:19], off
	v_lshlrev_b64 v[12:13], 4, v[2:3]
	v_dual_mov_b32 v15, v7 :: v_dual_add_nc_u32 v14, 0x6c0, v6
	v_add_co_u32 v4, vcc_lo, v37, v0
	v_add_co_ci_u32_e32 v5, vcc_lo, v38, v1, vcc_lo
	s_delay_alu instid0(VALU_DEP_4)
	v_add_co_u32 v28, vcc_lo, v37, v12
	v_add_co_ci_u32_e32 v29, vcc_lo, v38, v13, vcc_lo
	v_lshlrev_b64 v[12:13], 4, v[14:15]
	v_dual_mov_b32 v21, v7 :: v_dual_add_nc_u32 v20, 0x798, v6
	v_dual_mov_b32 v23, v7 :: v_dual_add_nc_u32 v22, 0x870, v6
	ds_load_b128 v[0:3], v36 offset:20736
	ds_load_b128 v[8:11], v36 offset:24192
	v_add_co_u32 v30, vcc_lo, v37, v12
	v_add_co_ci_u32_e32 v31, vcc_lo, v38, v13, vcc_lo
	ds_load_b128 v[12:15], v36 offset:27648
	ds_load_b128 v[16:19], v36 offset:31104
	v_lshlrev_b64 v[32:33], 4, v[20:21]
	v_lshlrev_b64 v[34:35], 4, v[22:23]
	ds_load_b128 v[20:23], v36 offset:34560
	ds_load_b128 v[24:27], v36 offset:38016
	v_add_nc_u32_e32 v6, 0x948, v6
	v_add_co_u32 v32, vcc_lo, v37, v32
	s_delay_alu instid0(VALU_DEP_2) | instskip(SKIP_3) | instid1(VALU_DEP_4)
	v_lshlrev_b64 v[6:7], 4, v[6:7]
	v_add_co_ci_u32_e32 v33, vcc_lo, v38, v33, vcc_lo
	v_add_co_u32 v34, vcc_lo, v37, v34
	v_add_co_ci_u32_e32 v35, vcc_lo, v38, v35, vcc_lo
	v_add_co_u32 v6, vcc_lo, v37, v6
	v_add_co_ci_u32_e32 v7, vcc_lo, v38, v7, vcc_lo
	s_waitcnt lgkmcnt(5)
	global_store_b128 v[4:5], v[0:3], off
	s_waitcnt lgkmcnt(4)
	global_store_b128 v[28:29], v[8:11], off
	;; [unrolled: 2-line block ×6, first 2 shown]
.LBB0_21:
	s_nop 0
	s_sendmsg sendmsg(MSG_DEALLOC_VGPRS)
	s_endpgm
	.section	.rodata,"a",@progbits
	.p2align	6, 0x0
	.amdhsa_kernel fft_rtc_back_len2592_factors_6_6_6_6_2_wgs_216_tpt_216_halfLds_dp_op_CI_CI_unitstride_sbrr_C2R_dirReg
		.amdhsa_group_segment_fixed_size 0
		.amdhsa_private_segment_fixed_size 0
		.amdhsa_kernarg_size 104
		.amdhsa_user_sgpr_count 15
		.amdhsa_user_sgpr_dispatch_ptr 0
		.amdhsa_user_sgpr_queue_ptr 0
		.amdhsa_user_sgpr_kernarg_segment_ptr 1
		.amdhsa_user_sgpr_dispatch_id 0
		.amdhsa_user_sgpr_private_segment_size 0
		.amdhsa_wavefront_size32 1
		.amdhsa_uses_dynamic_stack 0
		.amdhsa_enable_private_segment 0
		.amdhsa_system_sgpr_workgroup_id_x 1
		.amdhsa_system_sgpr_workgroup_id_y 0
		.amdhsa_system_sgpr_workgroup_id_z 0
		.amdhsa_system_sgpr_workgroup_info 0
		.amdhsa_system_vgpr_workitem_id 0
		.amdhsa_next_free_vgpr 94
		.amdhsa_next_free_sgpr 27
		.amdhsa_reserve_vcc 1
		.amdhsa_float_round_mode_32 0
		.amdhsa_float_round_mode_16_64 0
		.amdhsa_float_denorm_mode_32 3
		.amdhsa_float_denorm_mode_16_64 3
		.amdhsa_dx10_clamp 1
		.amdhsa_ieee_mode 1
		.amdhsa_fp16_overflow 0
		.amdhsa_workgroup_processor_mode 1
		.amdhsa_memory_ordered 1
		.amdhsa_forward_progress 0
		.amdhsa_shared_vgpr_count 0
		.amdhsa_exception_fp_ieee_invalid_op 0
		.amdhsa_exception_fp_denorm_src 0
		.amdhsa_exception_fp_ieee_div_zero 0
		.amdhsa_exception_fp_ieee_overflow 0
		.amdhsa_exception_fp_ieee_underflow 0
		.amdhsa_exception_fp_ieee_inexact 0
		.amdhsa_exception_int_div_zero 0
	.end_amdhsa_kernel
	.text
.Lfunc_end0:
	.size	fft_rtc_back_len2592_factors_6_6_6_6_2_wgs_216_tpt_216_halfLds_dp_op_CI_CI_unitstride_sbrr_C2R_dirReg, .Lfunc_end0-fft_rtc_back_len2592_factors_6_6_6_6_2_wgs_216_tpt_216_halfLds_dp_op_CI_CI_unitstride_sbrr_C2R_dirReg
                                        ; -- End function
	.section	.AMDGPU.csdata,"",@progbits
; Kernel info:
; codeLenInByte = 10692
; NumSgprs: 29
; NumVgprs: 94
; ScratchSize: 0
; MemoryBound: 0
; FloatMode: 240
; IeeeMode: 1
; LDSByteSize: 0 bytes/workgroup (compile time only)
; SGPRBlocks: 3
; VGPRBlocks: 11
; NumSGPRsForWavesPerEU: 29
; NumVGPRsForWavesPerEU: 94
; Occupancy: 16
; WaveLimiterHint : 1
; COMPUTE_PGM_RSRC2:SCRATCH_EN: 0
; COMPUTE_PGM_RSRC2:USER_SGPR: 15
; COMPUTE_PGM_RSRC2:TRAP_HANDLER: 0
; COMPUTE_PGM_RSRC2:TGID_X_EN: 1
; COMPUTE_PGM_RSRC2:TGID_Y_EN: 0
; COMPUTE_PGM_RSRC2:TGID_Z_EN: 0
; COMPUTE_PGM_RSRC2:TIDIG_COMP_CNT: 0
	.text
	.p2alignl 7, 3214868480
	.fill 96, 4, 3214868480
	.type	__hip_cuid_513d4c0955978e66,@object ; @__hip_cuid_513d4c0955978e66
	.section	.bss,"aw",@nobits
	.globl	__hip_cuid_513d4c0955978e66
__hip_cuid_513d4c0955978e66:
	.byte	0                               ; 0x0
	.size	__hip_cuid_513d4c0955978e66, 1

	.ident	"AMD clang version 19.0.0git (https://github.com/RadeonOpenCompute/llvm-project roc-6.4.0 25133 c7fe45cf4b819c5991fe208aaa96edf142730f1d)"
	.section	".note.GNU-stack","",@progbits
	.addrsig
	.addrsig_sym __hip_cuid_513d4c0955978e66
	.amdgpu_metadata
---
amdhsa.kernels:
  - .args:
      - .actual_access:  read_only
        .address_space:  global
        .offset:         0
        .size:           8
        .value_kind:     global_buffer
      - .offset:         8
        .size:           8
        .value_kind:     by_value
      - .actual_access:  read_only
        .address_space:  global
        .offset:         16
        .size:           8
        .value_kind:     global_buffer
      - .actual_access:  read_only
        .address_space:  global
        .offset:         24
        .size:           8
        .value_kind:     global_buffer
      - .actual_access:  read_only
        .address_space:  global
        .offset:         32
        .size:           8
        .value_kind:     global_buffer
      - .offset:         40
        .size:           8
        .value_kind:     by_value
      - .actual_access:  read_only
        .address_space:  global
        .offset:         48
        .size:           8
        .value_kind:     global_buffer
      - .actual_access:  read_only
        .address_space:  global
        .offset:         56
        .size:           8
        .value_kind:     global_buffer
      - .offset:         64
        .size:           4
        .value_kind:     by_value
      - .actual_access:  read_only
        .address_space:  global
        .offset:         72
        .size:           8
        .value_kind:     global_buffer
      - .actual_access:  read_only
        .address_space:  global
        .offset:         80
        .size:           8
        .value_kind:     global_buffer
      - .actual_access:  read_only
        .address_space:  global
        .offset:         88
        .size:           8
        .value_kind:     global_buffer
      - .actual_access:  write_only
        .address_space:  global
        .offset:         96
        .size:           8
        .value_kind:     global_buffer
    .group_segment_fixed_size: 0
    .kernarg_segment_align: 8
    .kernarg_segment_size: 104
    .language:       OpenCL C
    .language_version:
      - 2
      - 0
    .max_flat_workgroup_size: 216
    .name:           fft_rtc_back_len2592_factors_6_6_6_6_2_wgs_216_tpt_216_halfLds_dp_op_CI_CI_unitstride_sbrr_C2R_dirReg
    .private_segment_fixed_size: 0
    .sgpr_count:     29
    .sgpr_spill_count: 0
    .symbol:         fft_rtc_back_len2592_factors_6_6_6_6_2_wgs_216_tpt_216_halfLds_dp_op_CI_CI_unitstride_sbrr_C2R_dirReg.kd
    .uniform_work_group_size: 1
    .uses_dynamic_stack: false
    .vgpr_count:     94
    .vgpr_spill_count: 0
    .wavefront_size: 32
    .workgroup_processor_mode: 1
amdhsa.target:   amdgcn-amd-amdhsa--gfx1100
amdhsa.version:
  - 1
  - 2
...

	.end_amdgpu_metadata
